;; amdgpu-corpus repo=ROCm/aiter kind=harvested arch=n/a opt=n/a

/root/src/amdgpu-assembly/repos/ROCm__aiter/hsa/gfx942/fmha_v3_bwd/bwd_hd192_bf16_a32_rtz_psskddv.co:	file format elf64-amdgpu

Disassembly of section .text:

0000000000003e00 <_ZN5aiter35fmha_bwd_hd192_bf16_a32_rtz_psskddvE>:
	s_and_b32 s1, s1, 0xffff                                   // 000000003E00: 8601FF01 0000FFFF
	s_load_dwordx2 s[32:33], s[0:1], 0x0                       // 000000003E08: C0060800 00000000
	s_load_dwordx2 s[36:37], s[0:1], 0x10                      // 000000003E10: C0060900 00000010
	s_load_dwordx2 s[40:41], s[0:1], 0x20                      // 000000003E18: C0060A00 00000020
	s_load_dwordx2 s[8:9], s[0:1], 0x30                        // 000000003E20: C0060200 00000030
	s_load_dwordx2 s[12:13], s[0:1], 0x40                      // 000000003E28: C0060300 00000040
	s_load_dwordx2 s[16:17], s[0:1], 0x50                      // 000000003E30: C0060400 00000050
	s_load_dwordx2 s[20:21], s[0:1], 0x60                      // 000000003E38: C0060500 00000060
	s_load_dwordx2 s[24:25], s[0:1], 0x70                      // 000000003E40: C0060600 00000070
	s_load_dwordx2 s[28:29], s[0:1], 0x80                      // 000000003E48: C0060700 00000080
	s_load_dword s47, s[0:1], 0x90                             // 000000003E50: C0020BC0 00000090
	s_load_dword s48, s[0:1], 0xa0                             // 000000003E58: C0020C00 000000A0
	s_load_dword s49, s[0:1], 0xb0                             // 000000003E60: C0020C40 000000B0
	s_load_dword s74, s[0:1], 0xd0                             // 000000003E68: C0021280 000000D0
	s_load_dword s75, s[0:1], 0xe0                             // 000000003E70: C00212C0 000000E0
	s_load_dword s5, s[0:1], 0xf0                              // 000000003E78: C0020140 000000F0
	s_load_dword s44, s[0:1], 0x100                            // 000000003E80: C0020B00 00000100
	s_load_dword s76, s[0:1], 0x110                            // 000000003E88: C0021300 00000110
	s_load_dword s77, s[0:1], 0x120                            // 000000003E90: C0021340 00000120
	s_load_dword s6, s[0:1], 0x130                             // 000000003E98: C0020180 00000130
	s_load_dword s52, s[0:1], 0x140                            // 000000003EA0: C0020D00 00000140
	s_load_dword s50, s[0:1], 0x150                            // 000000003EA8: C0020C80 00000150
	s_load_dword s96, s[0:1], 0x160                            // 000000003EB0: C0021800 00000160
	s_load_dword s98, s[0:1], 0x180                            // 000000003EB8: C0021880 00000180
	s_load_dword s86, s[0:1], 0x190                            // 000000003EC0: C0021580 00000190
	s_load_dword s87, s[0:1], 0x1a0                            // 000000003EC8: C00215C0 000001A0
	s_load_dword s7, s[0:1], 0x1b0                             // 000000003ED0: C00201C0 000001B0
	s_load_dword s88, s[0:1], 0x1c0                            // 000000003ED8: C0021600 000001C0
	s_load_dword s89, s[0:1], 0x1d0                            // 000000003EE0: C0021640 000001D0
	s_load_dword s51, s[0:1], 0x1e0                            // 000000003EE8: C0020CC0 000001E0
	s_load_dword s90, s[0:1], 0x1f0                            // 000000003EF0: C0021680 000001F0
	s_load_dword s91, s[0:1], 0x200                            // 000000003EF8: C00216C0 00000200
	s_load_dword s92, s[0:1], 0x210                            // 000000003F00: C0021700 00000210
	s_load_dword s93, s[0:1], 0x220                            // 000000003F08: C0021740 00000220
	s_load_dword s53, s[0:1], 0x230                            // 000000003F10: C0020D40 00000230
	v_lshrrev_b32_e32 v1, 10, v0                               // 000000003F18: 2002008A
	v_lshrrev_b32_e32 v2, 10, v1                               // 000000003F1C: 2004028A
	v_and_b32_e32 v2, 0x3ff, v2                                // 000000003F20: 260404FF 000003FF
	v_and_b32_e32 v1, 0x3ff, v1                                // 000000003F28: 260202FF 000003FF
	v_and_b32_e32 v0, 0x3ff, v0                                // 000000003F30: 260000FF 000003FF
	v_lshrrev_b32_e32 v3, 6, v0                                // 000000003F38: 20060086
	v_and_b32_e32 v0, 63, v0                                   // 000000003F3C: 260000BF
	s_mov_b32 s2, s2                                           // 000000003F40: BE820002
	s_mov_b32 s3, s3                                           // 000000003F44: BE830003
	s_mov_b32 s4, s4                                           // 000000003F48: BE840004
	v_readfirstlane_b32 s46, v3                                // 000000003F4C: 7E5C0503
	s_waitcnt lgkmcnt(0)                                       // 000000003F50: BF8CC07F
	s_mov_b32 s11, 0x20000                                     // 000000003F54: BE8B00FF 00020000
	s_mov_b32 s15, 0x20000                                     // 000000003F5C: BE8F00FF 00020000
	s_mov_b32 s19, 0x20000                                     // 000000003F64: BE9300FF 00020000
	s_mov_b32 s23, 0x20000                                     // 000000003F6C: BE9700FF 00020000
	s_mov_b32 s27, 0x20000                                     // 000000003F74: BE9B00FF 00020000
	s_mov_b32 s31, 0x20000                                     // 000000003F7C: BE9F00FF 00020000
	s_mov_b32 s35, 0x20000                                     // 000000003F84: BEA300FF 00020000
	s_mov_b32 s39, 0x20000                                     // 000000003F8C: BEA700FF 00020000
	s_mov_b32 s43, 0x20000                                     // 000000003F94: BEAB00FF 00020000
	s_and_b32 s9, s9, 0xffff                                   // 000000003F9C: 8609FF09 0000FFFF
	s_and_b32 s13, s13, 0xffff                                 // 000000003FA4: 860DFF0D 0000FFFF
	s_and_b32 s17, s17, 0xffff                                 // 000000003FAC: 8611FF11 0000FFFF
	s_and_b32 s21, s21, 0xffff                                 // 000000003FB4: 8615FF15 0000FFFF
	s_and_b32 s25, s25, 0xffff                                 // 000000003FBC: 8619FF19 0000FFFF
	s_and_b32 s29, s29, 0xffff                                 // 000000003FC4: 861DFF1D 0000FFFF
	s_and_b32 s33, s33, 0xffff                                 // 000000003FCC: 8621FF21 0000FFFF
	s_and_b32 s37, s37, 0xffff                                 // 000000003FD4: 8625FF25 0000FFFF
	s_and_b32 s41, s41, 0xffff                                 // 000000003FDC: 8629FF29 0000FFFF
	s_or_b32 s9, s9, 0x40000                                   // 000000003FE4: 8709FF09 00040000
	s_or_b32 s13, s13, 0x40000                                 // 000000003FEC: 870DFF0D 00040000
	s_or_b32 s17, s17, 0x40000                                 // 000000003FF4: 8711FF11 00040000
	s_or_b32 s21, s21, 0x40000                                 // 000000003FFC: 8715FF15 00040000
	s_or_b32 s25, s25, 0x40000                                 // 000000004004: 8719FF19 00040000
	s_or_b32 s29, s29, 0x40000                                 // 00000000400C: 871DFF1D 00040000
	s_or_b32 s33, s33, 0x40000                                 // 000000004014: 8721FF21 00040000
	s_or_b32 s37, s37, 0x40000                                 // 00000000401C: 8725FF25 00040000
	s_or_b32 s41, s41, 0x40000                                 // 000000004024: 8729FF29 00040000
	v_accvgpr_write_b32 a143, 0                                // 00000000402C: D3D9408F 18000080
	v_mov_b32_e32 v213, 0                                      // 000000004034: 7FAA0280
	s_mov_b32 s78, s8                                          // 000000004038: BECE0008
	s_mov_b32 s80, s12                                         // 00000000403C: BED0000C
	s_mov_b32 s82, s16                                         // 000000004040: BED20010
	s_mov_b32 s84, s20                                         // 000000004044: BED40014
	s_mov_b32 s79, s9                                          // 000000004048: BECF0009
	s_mov_b32 s81, s13                                         // 00000000404C: BED1000D
	s_mov_b32 s83, s17                                         // 000000004050: BED30011
	s_mov_b32 s85, s21                                         // 000000004054: BED50015
	s_mov_b32 s71, s3                                          // 000000004058: BEC70003
	v_cvt_f32_u32_e32 v28, s44                                 // 00000000405C: 7E380C2C
	s_sub_i32 s60, 0, s44                                      // 000000004060: 81BC2C80
	v_rcp_iflag_f32_e32 v28, v28                               // 000000004064: 7E38471C
	s_nop 0                                                    // 000000004068: BF800000
	v_mul_f32_e32 v28, 0x4f7ffffe, v28                         // 00000000406C: 0A3838FF 4F7FFFFE
	v_cvt_u32_f32_e32 v28, v28                                 // 000000004074: 7E380F1C
	v_mul_lo_u32 v29, s60, v28                                 // 000000004078: D285001D 0002383C
	v_mul_hi_u32 v29, v28, v29                                 // 000000004080: D286001D 00023B1C
	v_add_u32_e32 v28, v28, v29                                // 000000004088: 68383B1C
	v_mul_hi_u32 v28, s71, v28                                 // 00000000408C: D286001C 00023847
	v_mul_lo_u32 v29, v28, s44                                 // 000000004094: D285001D 0000591C
	v_sub_u32_e32 v31, s71, v29                                // 00000000409C: 6A3E3A47
	v_add_u32_e32 v30, 1, v28                                  // 0000000040A0: 683C3881
	v_cmp_le_u32_e32 vcc, s44, v31                             // 0000000040A4: 7D963E2C
	v_subrev_u32_e32 v29, s44, v31                             // 0000000040A8: 6C3A3E2C
	s_nop 0                                                    // 0000000040AC: BF800000
	v_cndmask_b32_e32 v28, v28, v30, vcc                       // 0000000040B0: 00383D1C
	v_cndmask_b32_e32 v31, v31, v29, vcc                       // 0000000040B4: 003E3B1F
	v_add_u32_e32 v29, 1, v28                                  // 0000000040B8: 683A3881
	v_cmp_le_u32_e32 vcc, s44, v31                             // 0000000040BC: 7D963E2C
	s_nop 1                                                    // 0000000040C0: BF800001
	v_cndmask_b32_e32 v31, v28, v29, vcc                       // 0000000040C4: 003E3B1C
	s_nop 3                                                    // 0000000040C8: BF800003
	v_readfirstlane_b32 s45, v31                               // 0000000040CC: 7E5A051F
	s_nop 3                                                    // 0000000040D0: BF800003
	v_mov_b32_e32 v28, s47                                     // 0000000040D4: 7E38022F
	v_mul_f32_e32 v28, s48, v28                                // 0000000040D8: 0A383830
	s_mov_b32 s66, 0                                           // 0000000040DC: BEC20080
	s_mov_b32 s58, s49                                         // 0000000040E0: BEBA0031
	s_mov_b32 s59, 0                                           // 0000000040E4: BEBB0080
	s_mov_b32 s63, 0x5040100                                   // 0000000040E8: BEBF00FF 05040100
	s_mov_b32 s64, 0x7060302                                   // 0000000040F0: BEC000FF 07060302
	v_readfirstlane_b32 s57, v28                               // 0000000040F8: 7E72051C
	v_mov_b32_e32 v30, 0x3020706                               // 0000000040FC: 7E3C02FF 03020706
	v_mov_b32_e32 v28, s63                                     // 000000004104: 7E38023F
	v_and_b32_e32 v29, 1, v0                                   // 000000004108: 263A0081
	v_cmp_eq_u32_e32 vcc, 1, v29                               // 00000000410C: 7D943A81
	s_mul_i32 s60, s96, 64                                     // 000000004110: 923CC060
	s_mov_b32 s67, s60                                         // 000000004114: BEC3003C
	v_cndmask_b32_e32 v15, v28, v30, vcc                       // 000000004118: 001E3D1C
	v_mov_b32_e32 v159, 0xff800000                             // 00000000411C: 7F3E02FF FF800000
	s_mul_i32 s68, 4, s5                                       // 000000004124: 92440584
	s_mul_i32 s97, 4, s51                                      // 000000004128: 92613384
	s_mov_b32 s69, 16                                          // 00000000412C: BEC50090
	s_mul_i32 s60, s6, 64                                      // 000000004130: 923CC006
	s_mul_i32 s60, s2, s60                                     // 000000004134: 923C3C02
	s_mul_i32 s61, s45, s76                                    // 000000004138: 923D4C2D
	s_add_u32 s54, s60, s61                                    // 00000000413C: 80363D3C
	s_mul_i32 s60, s2, 64                                      // 000000004140: 923CC002
	s_sub_i32 s60, s50, s60                                    // 000000004144: 81BC3C32
	s_mul_i32 s60, s6, s60                                     // 000000004148: 923C3C06
	s_lshr_b32 s60, s60, 2                                     // 00000000414C: 8F3C823C
	s_mov_b32 s14, s60                                         // 000000004150: BE8E003C
	s_add_u32 s12, s54, s80                                    // 000000004154: 800C5036
	s_addc_u32 s13, 0, s81                                     // 000000004158: 820D5180
	s_mul_i32 s60, s4, s77                                     // 00000000415C: 923C4D04
	s_mul_hi_u32 s61, s4, s77                                  // 000000004160: 963D4D04
	s_and_b32 s61, s61, 0xffff                                 // 000000004164: 863DFF3D 0000FFFF
	s_add_u32 s12, s12, s60                                    // 00000000416C: 800C3C0C
	s_addc_u32 s13, s13, s61                                   // 000000004170: 820D3D0D
	s_mul_i32 s60, s7, 64                                      // 000000004174: 923CC007
	s_mul_i32 s60, s2, s60                                     // 000000004178: 923C3C02
	s_mul_i32 s61, s45, s86                                    // 00000000417C: 923D562D
	s_add_u32 s54, s60, s61                                    // 000000004180: 80363D3C
	s_mul_i32 s60, s2, 64                                      // 000000004184: 923CC002
	s_sub_i32 s60, s50, s60                                    // 000000004188: 81BC3C32
	s_mul_i32 s60, s7, s60                                     // 00000000418C: 923C3C07
	s_lshr_b32 s60, s60, 2                                     // 000000004190: 8F3C823C
	s_mov_b32 s18, s60                                         // 000000004194: BE92003C
	s_add_u32 s16, s54, s82                                    // 000000004198: 80105236
	s_addc_u32 s17, 0, s83                                     // 00000000419C: 82115380
	s_mul_i32 s60, s4, s87                                     // 0000000041A0: 923C5704
	s_mul_hi_u32 s61, s4, s87                                  // 0000000041A4: 963D5704
	s_and_b32 s61, s61, 0xffff                                 // 0000000041A8: 863DFF3D 0000FFFF
	s_add_u32 s16, s16, s60                                    // 0000000041B0: 80103C10
	s_addc_u32 s17, s17, s61                                   // 0000000041B4: 82113D11
	s_mul_i32 s61, s3, s74                                     // 0000000041B8: 923D4A03
	s_mov_b32 s55, s61                                         // 0000000041BC: BEB7003D
	s_mul_i32 s60, s5, s49                                     // 0000000041C0: 923C3105
	s_lshr_b32 s60, s60, 2                                     // 0000000041C4: 8F3C823C
	s_mov_b32 s10, s60                                         // 0000000041C8: BE8A003C
	s_add_u32 s8, s55, s78                                     // 0000000041CC: 80084E37
	s_addc_u32 s9, 0, s79                                      // 0000000041D0: 82094F80
	s_mul_i32 s60, s4, s75                                     // 0000000041D4: 923C4B04
	s_mul_hi_u32 s61, s4, s75                                  // 0000000041D8: 963D4B04
	s_and_b32 s61, s61, 0xffff                                 // 0000000041DC: 863DFF3D 0000FFFF
	s_add_u32 s8, s8, s60                                      // 0000000041E4: 80083C08
	s_addc_u32 s9, s9, s61                                     // 0000000041E8: 82093D09
	s_mul_i32 s61, s3, s88                                     // 0000000041EC: 923D5803
	s_mov_b32 s56, s61                                         // 0000000041F0: BEB8003D
	s_mul_i32 s60, s51, s49                                    // 0000000041F4: 923C3133
	s_lshr_b32 s60, s60, 2                                     // 0000000041F8: 8F3C823C
	s_mov_b32 s22, s60                                         // 0000000041FC: BE96003C
	s_add_u32 s20, s56, s84                                    // 000000004200: 80145438
	s_addc_u32 s21, 0, s85                                     // 000000004204: 82155580
	s_mul_i32 s60, s4, s89                                     // 000000004208: 923C5904
	s_mul_hi_u32 s61, s4, s89                                  // 00000000420C: 963D5904
	s_and_b32 s61, s61, 0xffff                                 // 000000004210: 863DFF3D 0000FFFF
	s_add_u32 s20, s20, s60                                    // 000000004218: 80143C14
	s_addc_u32 s21, s21, s61                                   // 00000000421C: 82153D15
	s_mul_i32 s62, s4, s98                                     // 000000004220: 923E6204
	s_mul_i32 s62, s62, s49                                    // 000000004224: 923E313E
	s_lshl_b32 s62, s62, 2                                     // 000000004228: 8E3E823E
	s_mul_i32 s61, s3, s49                                     // 00000000422C: 923D3103
	s_mul_i32 s61, 4, s61                                      // 000000004230: 923D3D84
	s_add_u32 s65, s61, s62                                    // 000000004234: 80413E3D
	s_mul_i32 s60, 4, s49                                      // 000000004238: 923C3184
	s_add_u32 s60, s60, s61                                    // 00000000423C: 803C3D3C
	s_add_u32 s60, s60, s62                                    // 000000004240: 803C3E3C
	s_lshr_b32 s60, s60, 2                                     // 000000004244: 8F3C823C
	s_mov_b32 s26, s60                                         // 000000004248: BE9A003C
	s_mov_b32 s30, s60                                         // 00000000424C: BE9E003C
	s_cmp_lt_u32 s46, 2                                        // 000000004250: BF0A822E
	s_cselect_b32 s24, s24, s28                                // 000000004254: 85181C18
	s_cselect_b32 s25, s25, s29                                // 000000004258: 85191D19
	s_cselect_b32 s26, s26, s30                                // 00000000425C: 851A1E1A
	s_cselect_b32 s27, s27, s31                                // 000000004260: 851B1F1B
	s_mov_b32 s71, s6                                          // 000000004264: BEC70006
	v_lshrrev_b32_e32 v28, 4, v0                               // 000000004268: 20380084
	v_and_b32_e32 v29, 1, v28                                  // 00000000426C: 263A3881
	v_lshlrev_b32_e32 v29, 1, v29                              // 000000004270: 243A3A81
	v_mul_i32_i24_e32 v29, s71, v29                            // 000000004274: 0C3A3A47
	v_and_b32_e32 v30, 2, v28                                  // 000000004278: 263C3882
	v_lshlrev_b32_e32 v30, 5, v30                              // 00000000427C: 243C3C85
	v_add_u32_e32 v29, v30, v29                                // 000000004280: 683A3B1E
	v_and_b32_e32 v28, 15, v0                                  // 000000004284: 2638008F
	v_lshlrev_b32_e32 v28, 2, v28                              // 000000004288: 24383882
	v_add_u32_e32 v1, v28, v29                                 // 00000000428C: 68023B1C
	s_mul_i32 s60, s46, s71                                    // 000000004290: 923C472E
	s_mul_i32 s60, s60, 4                                      // 000000004294: 923C843C
	v_add_u32_e32 v1, s60, v1                                  // 000000004298: 6802023C
	v_add_u32_e32 v2, s71, v1                                  // 00000000429C: 68040247
	s_mov_b32 s71, s7                                          // 0000000042A0: BEC70007
	v_lshrrev_b32_e32 v28, 4, v0                               // 0000000042A4: 20380084
	v_and_b32_e32 v29, 1, v28                                  // 0000000042A8: 263A3881
	v_lshlrev_b32_e32 v29, 1, v29                              // 0000000042AC: 243A3A81
	v_mul_i32_i24_e32 v29, s71, v29                            // 0000000042B0: 0C3A3A47
	v_and_b32_e32 v30, 2, v28                                  // 0000000042B4: 263C3882
	v_lshlrev_b32_e32 v30, 5, v30                              // 0000000042B8: 243C3C85
	v_add_u32_e32 v29, v30, v29                                // 0000000042BC: 683A3B1E
	v_and_b32_e32 v28, 15, v0                                  // 0000000042C0: 2638008F
	v_lshlrev_b32_e32 v28, 2, v28                              // 0000000042C4: 24383882
	v_add_u32_e32 v212, v28, v29                               // 0000000042C8: 69A83B1C
	s_mul_i32 s60, s46, s71                                    // 0000000042CC: 923C472E
	s_mul_i32 s60, s60, 4                                      // 0000000042D0: 923C843C
	v_add_u32_e32 v212, s60, v212                              // 0000000042D4: 69A9A83C
	v_add_u32_e32 v213, s71, v212                              // 0000000042D8: 69ABA847
	v_lshrrev_b32_e32 v1, 2, v1                                // 0000000042DC: 20020282
	v_lshrrev_b32_e32 v2, 2, v2                                // 0000000042E0: 20040482
	v_lshrrev_b32_e32 v212, 2, v212                            // 0000000042E4: 21A9A882
	v_lshrrev_b32_e32 v213, 2, v213                            // 0000000042E8: 21ABAA82
	v_and_b32_e32 v9, 15, v0                                   // 0000000042EC: 2612008F
	v_lshlrev_b32_e32 v9, 2, v9                                // 0000000042F0: 24121282
	v_add_u32_e32 v9, s65, v9                                  // 0000000042F4: 68121241
	v_lshrrev_b32_e32 v9, 2, v9                                // 0000000042F8: 20121282
	s_mov_b32 s70, s52                                         // 0000000042FC: BEC60034
	v_lshrrev_b32_e32 v28, 3, v0                               // 000000004300: 20380083
	v_mul_i32_i24_e32 v3, s70, v28                             // 000000004304: 0C063846
	v_lshrrev_b32_e32 v3, 2, v3                                // 000000004308: 20060682
	v_and_b32_e32 v28, 7, v0                                   // 00000000430C: 26380087
	v_lshlrev_b32_e32 v29, 2, v28                              // 000000004310: 243A3882
	v_add_u32_e32 v3, v29, v3                                  // 000000004314: 6806071D
	s_mul_i32 s60, 16, s70                                     // 000000004318: 923C4690
	s_mul_i32 s60, s46, s60                                    // 00000000431C: 923C3C2E
	v_lshlrev_b32_e32 v3, 2, v3                                // 000000004320: 24060682
	v_add_u32_e32 v3, s60, v3                                  // 000000004324: 6806063C
	s_mul_i32 s60, 8, s70                                      // 000000004328: 923C4688
	v_add_u32_e32 v4, s60, v3                                  // 00000000432C: 6808063C
	s_mul_i32 s60, 64, s52                                     // 000000004330: 923C34C0
	s_mul_i32 s60, s2, s60                                     // 000000004334: 923C3C02
	s_mul_i32 s61, s3, s90                                     // 000000004338: 923D5A03
	s_mul_i32 s62, s4, s91                                     // 00000000433C: 923E5B04
	s_add_u32 s60, s60, s61                                    // 000000004340: 803C3D3C
	v_add_u32_e32 v3, s60, v3                                  // 000000004344: 6806063C
	v_lshrrev_b32_e32 v3, 2, v3                                // 000000004348: 20060682
	v_add_u32_e32 v4, s60, v4                                  // 00000000434C: 6808083C
	v_lshrrev_b32_e32 v4, 2, v4                                // 000000004350: 20080882
	s_mul_i32 s60, s50, s52                                    // 000000004354: 923C3432
	s_add_u32 s60, s60, s61                                    // 000000004358: 803C3D3C
	s_lshr_b32 s60, s60, 2                                     // 00000000435C: 8F3C823C
	s_mov_b32 s38, s60                                         // 000000004360: BEA6003C
	s_mul_hi_u32 s60, s4, s91                                  // 000000004364: 963C5B04
	s_and_b32 s60, s60, 0xffff                                 // 000000004368: 863CFF3C 0000FFFF
	s_add_u32 s36, s62, s36                                    // 000000004370: 8024243E
	s_addc_u32 s37, s60, s37                                   // 000000004374: 8225253C
	s_mov_b32 s70, s53                                         // 000000004378: BEC60035
	v_lshrrev_b32_e32 v28, 3, v0                               // 00000000437C: 20380083
	v_mul_i32_i24_e32 v5, s70, v28                             // 000000004380: 0C0A3846
	v_lshrrev_b32_e32 v5, 2, v5                                // 000000004384: 200A0A82
	v_and_b32_e32 v28, 7, v0                                   // 000000004388: 26380087
	v_lshlrev_b32_e32 v29, 2, v28                              // 00000000438C: 243A3882
	v_add_u32_e32 v5, v29, v5                                  // 000000004390: 680A0B1D
	s_mul_i32 s60, 16, s70                                     // 000000004394: 923C4690
	s_mul_i32 s60, s46, s60                                    // 000000004398: 923C3C2E
	v_lshlrev_b32_e32 v5, 2, v5                                // 00000000439C: 240A0A82
	v_add_u32_e32 v5, s60, v5                                  // 0000000043A0: 680A0A3C
	s_mul_i32 s60, 8, s70                                      // 0000000043A4: 923C4688
	v_add_u32_e32 v6, s60, v5                                  // 0000000043A8: 680C0A3C
	s_mul_i32 s60, 64, s53                                     // 0000000043AC: 923C35C0
	s_mul_i32 s60, s2, s60                                     // 0000000043B0: 923C3C02
	s_mul_i32 s61, s3, s92                                     // 0000000043B4: 923D5C03
	s_mul_i32 s62, s4, s93                                     // 0000000043B8: 923E5D04
	s_add_u32 s60, s60, s61                                    // 0000000043BC: 803C3D3C
	v_add_u32_e32 v5, s60, v5                                  // 0000000043C0: 680A0A3C
	v_lshrrev_b32_e32 v5, 2, v5                                // 0000000043C4: 200A0A82
	v_add_u32_e32 v6, s60, v6                                  // 0000000043C8: 680C0C3C
	v_lshrrev_b32_e32 v6, 2, v6                                // 0000000043CC: 200C0C82
	s_mul_i32 s60, s50, s53                                    // 0000000043D0: 923C3532
	s_add_u32 s60, s60, s61                                    // 0000000043D4: 803C3D3C
	s_lshr_b32 s60, s60, 2                                     // 0000000043D8: 8F3C823C
	s_mov_b32 s42, s60                                         // 0000000043DC: BEAA003C
	s_mul_hi_u32 s60, s4, s93                                  // 0000000043E0: 963C5D04
	s_and_b32 s60, s60, 0xffff                                 // 0000000043E4: 863CFF3C 0000FFFF
	s_add_u32 s40, s62, s40                                    // 0000000043EC: 8028283E
	s_addc_u32 s41, s60, s41                                   // 0000000043F0: 8229293C
	v_lshrrev_b32_e32 v28, 5, v0                               // 0000000043F4: 20380085
	v_mul_i32_i24_e64 v29, s96, 2                              // 0000000043F8: D106001D 00010460
	v_mul_i32_i24_e32 v7, v29, v28                             // 000000004400: 0C0E391D
	v_and_b32_e32 v28, 31, v0                                  // 000000004404: 2638009F
	v_add_u32_e32 v7, v28, v7                                  // 000000004408: 680E0F1C
	s_mul_i32 s60, 4, s96                                      // 00000000440C: 923C6084
	s_mul_i32 s60, s46, s60                                    // 000000004410: 923C3C2E
	v_add_u32_e32 v7, s60, v7                                  // 000000004414: 680E0E3C
	v_lshlrev_b32_e32 v7, 2, v7                                // 000000004418: 240E0E82
	v_mul_i32_i24_e32 v29, 2, v29                              // 00000000441C: 0C3A3A82
	v_add_u32_e32 v8, v29, v7                                  // 000000004420: 68100F1D
	s_mul_i32 s72, s96, s65                                    // 000000004424: 92484160
	s_mul_hi_u32 s62, s96, s65                                 // 000000004428: 963E4160
	s_and_b32 s62, s62, 0xffff                                 // 00000000442C: 863EFF3E 0000FFFF
	s_add_u32 s32, s72, s32                                    // 000000004434: 80202048
	s_addc_u32 s33, s62, s33                                   // 000000004438: 8221213E
	s_mul_i32 s60, s96, s49                                    // 00000000443C: 923C3160
	s_lshl_b32 s60, s60, 2                                     // 000000004440: 8E3C823C
	s_mov_b32 s34, s60                                         // 000000004444: BEA2003C
	v_mov_b32_e32 v209, 0xffff0000                             // 000000004448: 7FA202FF FFFF0000
	v_mov_b32_e32 v210, 0x7fff0000                             // 000000004450: 7FA402FF 7FFF0000
	v_mov_b32_e32 v211, 0x7fff                                 // 000000004458: 7FA602FF 00007FFF
	s_mul_i32 s60, 64, s2                                      // 000000004460: 923C02C0
	s_sub_i32 s99, s50, s60                                    // 000000004464: 81E33C32
	s_lshr_b32 s60, s46, 1                                     // 000000004468: 8F3C812E
	s_lshl_b32 s60, s60, 8                                     // 00000000446C: 8E3C883C
	s_add_u32 s76, 0x9f00, s60                                 // 000000004470: 804C3CFF 00009F00
	s_add_u32 s77, 0x200, s76                                  // 000000004478: 804D4CFF 00000200
	s_mov_b32 m0, s76                                          // 000000004480: BEFC004C
	v_lshrrev_b32_e32 v28, 2, v0                               // 000000004484: 20380082
	v_and_b32_e32 v29, 3, v28                                  // 000000004488: 263A3883
	v_lshrrev_b32_e32 v30, 3, v28                              // 00000000448C: 203C3883
	v_lshlrev_b32_e32 v30, 2, v30                              // 000000004490: 243C3C82
	v_add_u32_e32 v28, v30, v29                                // 000000004494: 68383B1E
	v_mov_b32_e32 v30, s96                                     // 000000004498: 7E3C0260
	v_mov_b32_e32 v29, 0x80                                    // 00000000449C: 7E3A02FF 00000080
	v_sub_u32_e32 v30, v30, v29                                // 0000000044A4: 6A3C3B1E
	v_lshrrev_b32_e32 v30, 3, v30                              // 0000000044A8: 203C3C83
	v_cmp_lt_u32_e64 s[88:89], v28, v30                        // 0000000044AC: D0C90058 00023D1C
	s_mov_b32 s86, -1                                          // 0000000044B4: BED600C1
	s_mov_b32 s87, -1                                          // 0000000044B8: BED700C1
	v_and_b32_e32 v28, 7, v0                                   // 0000000044BC: 26380087
	v_mov_b32_e32 v29, s96                                     // 0000000044C0: 7E3A0260
	v_mov_b32_e32 v30, 0x80                                    // 0000000044C4: 7E3C02FF 00000080
	v_sub_u32_e32 v29, v29, v30                                // 0000000044CC: 6A3A3D1D
	v_lshrrev_b32_e32 v29, 3, v29                              // 0000000044D0: 203A3A83
	v_cmp_lt_u32_e64 s[90:91], v28, v29                        // 0000000044D4: D0C9005A 00023B1C
	v_and_b32_e32 v28, 31, v0                                  // 0000000044DC: 2638009F
	v_lshrrev_b32_e32 v28, 3, v28                              // 0000000044E0: 20383883
	v_mov_b32_e32 v29, s96                                     // 0000000044E4: 7E3A0260
	v_mov_b32_e32 v30, 0x80                                    // 0000000044E8: 7E3C02FF 00000080
	v_sub_u32_e32 v29, v29, v30                                // 0000000044F0: 6A3A3D1D
	v_lshrrev_b32_e32 v29, 3, v29                              // 0000000044F4: 203A3A83
	v_cmp_lt_u32_e64 s[92:93], v28, v29                        // 0000000044F8: D0C9005C 00023B1C
	v_add_u32_e32 v28, 4, v28                                  // 000000004500: 68383884
	v_cmp_lt_u32_e64 s[94:95], v28, v29                        // 000000004504: D0C9005E 00023B1C
	v_and_b32_e32 v28, 31, v0                                  // 00000000450C: 2638009F
	v_lshrrev_b32_e32 v28, 1, v28                              // 000000004510: 20383881
	v_and_b32_e32 v29, 1, v28                                  // 000000004514: 263A3881
	v_lshlrev_b32_e32 v29, 4, v29                              // 000000004518: 243A3A84
	v_and_b32_e32 v30, 2, v28                                  // 00000000451C: 263C3882
	v_lshlrev_b32_e32 v30, 2, v30                              // 000000004520: 243C3C82
	v_add_u32_e32 v29, v30, v29                                // 000000004524: 683A3B1E
	v_and_b32_e32 v30, 12, v28                                 // 000000004528: 263C388C
	v_lshrrev_b32_e32 v30, 1, v30                              // 00000000452C: 203C3C81
	v_add_u32_e32 v29, v30, v29                                // 000000004530: 683A3B1E
	v_lshrrev_b32_e32 v28, 5, v0                               // 000000004534: 20380085
	v_mul_i32_i24_e32 v30, 0x80, v28                           // 000000004538: 0C3C38FF 00000080
	v_add_u32_e32 v29, v30, v29                                // 000000004540: 683A3B1E
	v_and_b32_e32 v30, 1, v0                                   // 000000004544: 263C0081
	v_add_u32_e32 v11, v30, v29                                // 000000004548: 68163B1E
	s_mul_i32 s60, s46, 32                                     // 00000000454C: 923CA02E
	v_add_u32_e32 v11, s60, v11                                // 000000004550: 6816163C
	v_lshlrev_b32_e32 v11, 2, v11                              // 000000004554: 24161682
	v_lshrrev_b32_e32 v28, 4, v0                               // 000000004558: 20380084
	v_and_b32_e32 v29, 1, v28                                  // 00000000455C: 263A3881
	v_lshlrev_b32_e32 v29, 4, v29                              // 000000004560: 243A3A84
	v_and_b32_e32 v30, 2, v28                                  // 000000004564: 263C3882
	v_mul_i32_i24_e32 v30, 4, v30                              // 000000004568: 0C3C3C84
	v_add_u32_e32 v29, v30, v29                                // 00000000456C: 683A3B1E
	v_and_b32_e32 v28, 15, v0                                  // 000000004570: 2638008F
	v_lshrrev_b32_e32 v30, 2, v28                              // 000000004574: 203C3882
	v_lshlrev_b32_e32 v30, 5, v30                              // 000000004578: 243C3C85
	v_add_u32_e32 v29, v30, v29                                // 00000000457C: 683A3B1E
	v_and_b32_e32 v28, 3, v0                                   // 000000004580: 26380083
	v_and_b32_e32 v30, 1, v28                                  // 000000004584: 263C3881
	v_mul_i32_i24_e32 v30, 0x108, v30                          // 000000004588: 0C3C3CFF 00000108
	v_add_u32_e32 v29, v30, v29                                // 000000004590: 683A3B1E
	v_and_b32_e32 v30, 2, v28                                  // 000000004594: 263C3882
	v_lshlrev_b32_e32 v30, 1, v30                              // 000000004598: 243C3C81
	v_add_u32_e32 v10, v30, v29                                // 00000000459C: 68143B1E
	v_lshlrev_b32_e32 v10, 2, v10                              // 0000000045A0: 24141482
	s_mul_i32 s60, s46, 0x1980                                 // 0000000045A4: 923CFF2E 00001980
	v_add_u32_e32 v22, s60, v10                                // 0000000045AC: 682C143C
	v_lshrrev_b32_e32 v28, 5, v0                               // 0000000045B0: 20380085
	v_mul_i32_i24_e32 v13, 0x80, v28                           // 0000000045B4: 0C1A38FF 00000080
	v_and_b32_e32 v28, 31, v0                                  // 0000000045BC: 2638009F
	v_and_b32_e32 v29, 7, v28                                  // 0000000045C0: 263A3887
	v_and_b32_e32 v30, 1, v29                                  // 0000000045C4: 263C3A81
	v_lshlrev_b32_e32 v30, 2, v30                              // 0000000045C8: 243C3C82
	v_add_u32_e32 v13, v30, v13                                // 0000000045CC: 681A1B1E
	v_and_b32_e32 v30, 2, v29                                  // 0000000045D0: 263C3A82
	v_lshlrev_b32_e32 v30, 3, v30                              // 0000000045D4: 243C3C83
	v_add_u32_e32 v13, v30, v13                                // 0000000045D8: 681A1B1E
	v_and_b32_e32 v30, 4, v29                                  // 0000000045DC: 263C3A84
	v_lshlrev_b32_e32 v30, 1, v30                              // 0000000045E0: 243C3C81
	v_add_u32_e32 v13, v30, v13                                // 0000000045E4: 681A1B1E
	v_lshrrev_b32_e32 v29, 3, v28                              // 0000000045E8: 203A3883
	v_and_b32_e32 v30, 1, v29                                  // 0000000045EC: 263C3A81
	v_lshlrev_b32_e32 v30, 1, v30                              // 0000000045F0: 243C3C81
	v_add_u32_e32 v13, v30, v13                                // 0000000045F4: 681A1B1E
	v_and_b32_e32 v30, 2, v29                                  // 0000000045F8: 263C3A82
	v_lshrrev_b32_e32 v30, 1, v30                              // 0000000045FC: 203C3C81
	v_add_u32_e32 v13, v30, v13                                // 000000004600: 681A1B1E
	s_mul_i32 s60, s46, 32                                     // 000000004604: 923CA02E
	v_add_u32_e32 v13, s60, v13                                // 000000004608: 681A1A3C
	v_lshlrev_b32_e32 v13, 2, v13                              // 00000000460C: 241A1A82
	v_and_b32_e32 v28, 15, v0                                  // 000000004610: 2638008F
	v_and_b32_e32 v30, 1, v28                                  // 000000004614: 263C3881
	v_mul_i32_i24_e32 v12, 0x108, v30                          // 000000004618: 0C183CFF 00000108
	v_and_b32_e32 v30, 2, v28                                  // 000000004620: 263C3882
	v_lshlrev_b32_e32 v30, 1, v30                              // 000000004624: 243C3C81
	v_add_u32_e32 v12, v30, v12                                // 000000004628: 6818191E
	v_and_b32_e32 v30, 4, v28                                  // 00000000462C: 263C3884
	v_lshlrev_b32_e32 v30, 2, v30                              // 000000004630: 243C3C82
	v_add_u32_e32 v12, v30, v12                                // 000000004634: 6818191E
	v_and_b32_e32 v30, 8, v28                                  // 000000004638: 263C3888
	v_add_u32_e32 v12, v30, v12                                // 00000000463C: 6818191E
	v_lshrrev_b32_e32 v28, 4, v0                               // 000000004640: 20380084
	v_and_b32_e32 v30, 1, v28                                  // 000000004644: 263C3881
	v_lshlrev_b32_e32 v30, 5, v30                              // 000000004648: 243C3C85
	v_add_u32_e32 v12, v30, v12                                // 00000000464C: 6818191E
	v_and_b32_e32 v29, 2, v28                                  // 000000004650: 263A3882
	v_mul_i32_i24_e32 v30, 32, v29                             // 000000004654: 0C3C3AA0
	v_add_u32_e32 v12, v30, v12                                // 000000004658: 6818191E
	v_lshlrev_b32_e32 v12, 2, v12                              // 00000000465C: 24181882
	v_lshrrev_b32_e32 v28, 4, v0                               // 000000004660: 20380084
	v_mul_i32_i24_e32 v21, 4, v28                              // 000000004664: 0C2A3884
	v_and_b32_e32 v29, 3, v0                                   // 000000004668: 263A0083
	v_add_u32_e32 v21, v29, v21                                // 00000000466C: 682A2B1D
	v_lshlrev_b32_e32 v21, 2, v21                              // 000000004670: 242A2A82
	v_lshrrev_b32_e32 v28, 5, v0                               // 000000004674: 20380085
	v_mul_i32_i24_e32 v26, 0x104, v28                          // 000000004678: 0C3438FF 00000104
	v_and_b32_e32 v28, 31, v0                                  // 000000004680: 2638009F
	v_and_b32_e32 v29, 7, v28                                  // 000000004684: 263A3887
	v_lshlrev_b32_e32 v30, 2, v29                              // 000000004688: 243C3A82
	v_add_u32_e32 v26, v30, v26                                // 00000000468C: 6834351E
	v_lshrrev_b32_e32 v29, 3, v28                              // 000000004690: 203A3883
	v_and_b32_e32 v30, 1, v29                                  // 000000004694: 263C3A81
	v_mul_i32_i24_e32 v30, 0x82, v30                           // 000000004698: 0C3C3CFF 00000082
	v_add_u32_e32 v26, v30, v26                                // 0000000046A0: 6834351E
	v_and_b32_e32 v30, 2, v29                                  // 0000000046A4: 263C3A82
	v_lshrrev_b32_e32 v30, 1, v30                              // 0000000046A8: 203C3C81
	v_add_u32_e32 v26, v30, v26                                // 0000000046AC: 6834351E
	s_mul_i32 s60, s46, 32                                     // 0000000046B0: 923CA02E
	v_add_u32_e32 v26, s60, v26                                // 0000000046B4: 6834343C
	v_lshlrev_b32_e32 v26, 2, v26                              // 0000000046B8: 24343482
	v_lshrrev_b32_e32 v28, 5, v0                               // 0000000046BC: 20380085
	v_mul_i32_i24_e32 v23, 0x618, v28                          // 0000000046C0: 0C2E38FF 00000618
	v_and_b32_e32 v28, 31, v0                                  // 0000000046C8: 2638009F
	v_lshlrev_b32_e32 v28, 1, v28                              // 0000000046CC: 24383881
	v_add_u32_e32 v23, v28, v23                                // 0000000046D0: 682E2F1C
	s_mul_i32 s60, s46, 0x186                                  // 0000000046D4: 923CFF2E 00000186
	v_add_u32_e32 v23, s60, v23                                // 0000000046DC: 682E2E3C
	v_lshlrev_b32_e32 v23, 2, v23                              // 0000000046E0: 242E2E82
	v_lshrrev_b32_e32 v28, 4, v0                               // 0000000046E4: 20380084
	v_and_b32_e32 v29, 1, v28                                  // 0000000046E8: 263A3881
	v_mul_i32_i24_e32 v19, 0x100, v29                          // 0000000046EC: 0C263AFF 00000100
	v_and_b32_e32 v29, 2, v28                                  // 0000000046F4: 263A3882
	v_mul_i32_i24_e32 v29, 64, v29                             // 0000000046F8: 0C3A3AC0
	v_add_u32_e32 v19, v29, v19                                // 0000000046FC: 6826271D
	v_and_b32_e32 v28, 15, v0                                  // 000000004700: 2638008F
	v_mul_i32_i24_e32 v29, 2, v28                              // 000000004704: 0C3A3882
	v_add_u32_e32 v19, v29, v19                                // 000000004708: 6826271D
	s_mul_i32 s60, s46, 32                                     // 00000000470C: 923CA02E
	v_add_u32_e32 v19, s60, v19                                // 000000004710: 6826263C
	v_lshlrev_b32_e32 v19, 2, v19                              // 000000004714: 24262682
	v_lshlrev_b32_e32 v20, 1, v0                               // 000000004718: 24280081
	s_mul_i32 s60, s46, 0x300                                  // 00000000471C: 923CFF2E 00000300
	v_add_u32_e32 v20, s60, v20                                // 000000004724: 6828283C
	v_lshlrev_b32_e32 v20, 2, v20                              // 000000004728: 24282882
	v_lshrrev_b32_e32 v28, 5, v0                               // 00000000472C: 20380085
	v_mul_i32_i24_e32 v17, 64, v28                             // 000000004730: 0C2238C0
	v_and_b32_e32 v28, 31, v0                                  // 000000004734: 2638009F
	v_and_b32_e32 v28, 3, v28                                  // 000000004738: 26383883
	v_and_b32_e32 v29, 1, v28                                  // 00000000473C: 263A3881
	v_mul_i32_i24_e32 v29, 4, v29                              // 000000004740: 0C3A3A84
	v_add_u32_e32 v17, v29, v17                                // 000000004744: 6822231D
	v_and_b32_e32 v29, 2, v28                                  // 000000004748: 263A3882
	v_mul_i32_i24_e32 v29, 0x44, v29                           // 00000000474C: 0C3A3AFF 00000044
	v_add_u32_e32 v17, v29, v17                                // 000000004754: 6822231D
	v_and_b32_e32 v28, 31, v0                                  // 000000004758: 2638009F
	v_lshrrev_b32_e32 v28, 2, v28                              // 00000000475C: 20383882
	v_lshrrev_b32_e32 v30, 2, v28                              // 000000004760: 203C3882
	v_mul_i32_i24_e32 v29, 16, v30                             // 000000004764: 0C3A3C90
	v_add_u32_e32 v17, v29, v17                                // 000000004768: 6822231D
	v_and_b32_e32 v29, 2, v28                                  // 00000000476C: 263A3882
	v_lshlrev_b32_e32 v29, 4, v29                              // 000000004770: 243A3A84
	v_add_u32_e32 v17, v29, v17                                // 000000004774: 6822231D
	v_and_b32_e32 v29, 1, v28                                  // 000000004778: 263A3881
	v_xor_b32_e32 v29, v30, v29                                // 00000000477C: 2A3A3B1E
	v_mul_i32_i24_e32 v29, 8, v29                              // 000000004780: 0C3A3A88
	v_add_u32_e32 v17, v29, v17                                // 000000004784: 6822231D
	v_lshlrev_b32_e32 v17, 2, v17                              // 000000004788: 24222282
	v_lshrrev_b32_e32 v28, 5, v0                               // 00000000478C: 20380085
	v_mul_i32_i24_e32 v18, 32, v28                             // 000000004790: 0C2438A0
	v_and_b32_e32 v28, 31, v0                                  // 000000004794: 2638009F
	v_and_b32_e32 v28, 3, v28                                  // 000000004798: 26383883
	v_and_b32_e32 v29, 1, v28                                  // 00000000479C: 263A3881
	v_mul_i32_i24_e32 v29, 4, v29                              // 0000000047A0: 0C3A3A84
	v_add_u32_e32 v18, v29, v18                                // 0000000047A4: 6824251D
	v_and_b32_e32 v29, 2, v28                                  // 0000000047A8: 263A3882
	v_lshrrev_b32_e32 v29, 1, v29                              // 0000000047AC: 203A3A81
	v_add_u32_e32 v18, v29, v18                                // 0000000047B0: 6824251D
	v_and_b32_e32 v28, 31, v0                                  // 0000000047B4: 2638009F
	v_lshrrev_b32_e32 v28, 2, v28                              // 0000000047B8: 20383882
	v_and_b32_e32 v30, 1, v28                                  // 0000000047BC: 263C3881
	v_mul_i32_i24_e32 v29, 16, v30                             // 0000000047C0: 0C3A3C90
	v_add_u32_e32 v18, v29, v18                                // 0000000047C4: 6824251D
	v_and_b32_e32 v29, 2, v28                                  // 0000000047C8: 263A3882
	v_add_u32_e32 v18, v29, v18                                // 0000000047CC: 6824251D
	v_lshrrev_b32_e32 v29, 2, v28                              // 0000000047D0: 203A3882
	v_xor_b32_e32 v29, v30, v29                                // 0000000047D4: 2A3A3B1E
	v_mul_i32_i24_e32 v29, 8, v29                              // 0000000047D8: 0C3A3A88
	v_add_u32_e32 v18, v29, v18                                // 0000000047DC: 6824251D
	s_and_b32 s60, 1, s46                                      // 0000000047E0: 863C2E81
	s_mul_i32 s60, s60, 64                                     // 0000000047E4: 923CC03C
	s_lshr_b32 s61, s46, 1                                     // 0000000047E8: 8F3D812E
	s_mul_i32 s61, s61, 0x120                                  // 0000000047EC: 923DFF3D 00000120
	s_add_u32 s60, s60, s61                                    // 0000000047F4: 803C3D3C
	v_add_u32_e32 v18, s60, v18                                // 0000000047F8: 6824243C
	v_lshlrev_b32_e32 v18, 2, v18                              // 0000000047FC: 24242482
	buffer_load_dword v160, v1, s[12:15], 0 idxen              // 000000004800: E0502000 8003A001
	buffer_load_dword v161, v2, s[12:15], 0 idxen              // 000000004808: E0502000 8003A102
	buffer_load_dword v162, v1, s[12:15], 0 idxen offset:128   // 000000004810: E0502080 8003A201
	buffer_load_dword v163, v2, s[12:15], 0 idxen offset:128   // 000000004818: E0502080 8003A302
	v_mov_b32_e32 v164, 0                                      // 000000004820: 7F480280
	s_mov_b64 exec, s[88:89]                                   // 000000004824: BEFE0158
	buffer_load_dword v164, v1, s[12:15], 0 idxen offset:256   // 000000004828: E0502100 8003A401
	s_mov_b64 exec, s[86:87]                                   // 000000004830: BEFE0156
	v_mov_b32_e32 v165, 0                                      // 000000004834: 7F4A0280
	s_mov_b64 exec, s[88:89]                                   // 000000004838: BEFE0158
	buffer_load_dword v165, v2, s[12:15], 0 idxen offset:256   // 00000000483C: E0502100 8003A502
	s_mov_b64 exec, s[86:87]                                   // 000000004844: BEFE0156
	s_mul_i32 s60, 4, s6                                       // 000000004848: 923C0684
	v_add_u32_e32 v1, s60, v1                                  // 00000000484C: 6802023C
	v_add_u32_e32 v2, s60, v2                                  // 000000004850: 6804043C
	buffer_load_dword v166, v1, s[12:15], 0 idxen              // 000000004854: E0502000 8003A601
	buffer_load_dword v167, v2, s[12:15], 0 idxen              // 00000000485C: E0502000 8003A702
	buffer_load_dword v168, v1, s[12:15], 0 idxen offset:128   // 000000004864: E0502080 8003A801
	buffer_load_dword v169, v2, s[12:15], 0 idxen offset:128   // 00000000486C: E0502080 8003A902
	v_mov_b32_e32 v170, 0                                      // 000000004874: 7F540280
	s_mov_b64 exec, s[88:89]                                   // 000000004878: BEFE0158
	buffer_load_dword v170, v1, s[12:15], 0 idxen offset:256   // 00000000487C: E0502100 8003AA01
	s_mov_b64 exec, s[86:87]                                   // 000000004884: BEFE0156
	v_mov_b32_e32 v171, 0                                      // 000000004888: 7F560280
	s_mov_b64 exec, s[88:89]                                   // 00000000488C: BEFE0158
	buffer_load_dword v171, v2, s[12:15], 0 idxen offset:256   // 000000004890: E0502100 8003AB02
	s_mov_b64 exec, s[86:87]                                   // 000000004898: BEFE0156
	s_mul_i32 s60, 4, s6                                       // 00000000489C: 923C0684
	v_add_u32_e32 v1, s60, v1                                  // 0000000048A0: 6802023C
	v_add_u32_e32 v2, s60, v2                                  // 0000000048A4: 6804043C
	buffer_load_dword v172, v1, s[12:15], 0 idxen              // 0000000048A8: E0502000 8003AC01
	buffer_load_dword v173, v2, s[12:15], 0 idxen              // 0000000048B0: E0502000 8003AD02
	buffer_load_dword v174, v1, s[12:15], 0 idxen offset:128   // 0000000048B8: E0502080 8003AE01
	buffer_load_dword v175, v2, s[12:15], 0 idxen offset:128   // 0000000048C0: E0502080 8003AF02
	v_mov_b32_e32 v176, 0                                      // 0000000048C8: 7F600280
	s_mov_b64 exec, s[88:89]                                   // 0000000048CC: BEFE0158
	buffer_load_dword v176, v1, s[12:15], 0 idxen offset:256   // 0000000048D0: E0502100 8003B001
	s_mov_b64 exec, s[86:87]                                   // 0000000048D8: BEFE0156
	v_mov_b32_e32 v177, 0                                      // 0000000048DC: 7F620280
	s_mov_b64 exec, s[88:89]                                   // 0000000048E0: BEFE0158
	buffer_load_dword v177, v2, s[12:15], 0 idxen offset:256   // 0000000048E4: E0502100 8003B102
	s_mov_b64 exec, s[86:87]                                   // 0000000048EC: BEFE0156
	s_mul_i32 s60, 4, s6                                       // 0000000048F0: 923C0684
	v_add_u32_e32 v1, s60, v1                                  // 0000000048F4: 6802023C
	v_add_u32_e32 v2, s60, v2                                  // 0000000048F8: 6804043C
	buffer_load_dword v178, v1, s[12:15], 0 idxen              // 0000000048FC: E0502000 8003B201
	buffer_load_dword v179, v2, s[12:15], 0 idxen              // 000000004904: E0502000 8003B302
	buffer_load_dword v180, v1, s[12:15], 0 idxen offset:128   // 00000000490C: E0502080 8003B401
	buffer_load_dword v181, v2, s[12:15], 0 idxen offset:128   // 000000004914: E0502080 8003B502
	v_mov_b32_e32 v182, 0                                      // 00000000491C: 7F6C0280
	s_mov_b64 exec, s[88:89]                                   // 000000004920: BEFE0158
	buffer_load_dword v182, v1, s[12:15], 0 idxen offset:256   // 000000004924: E0502100 8003B601
	s_mov_b64 exec, s[86:87]                                   // 00000000492C: BEFE0156
	v_mov_b32_e32 v183, 0                                      // 000000004930: 7F6E0280
	s_mov_b64 exec, s[88:89]                                   // 000000004934: BEFE0158
	buffer_load_dword v183, v2, s[12:15], 0 idxen offset:256   // 000000004938: E0502100 8003B702
	s_mov_b64 exec, s[86:87]                                   // 000000004940: BEFE0156
	s_mul_i32 s60, 4, s6                                       // 000000004944: 923C0684
	v_add_u32_e32 v1, s60, v1                                  // 000000004948: 6802023C
	v_add_u32_e32 v2, s60, v2                                  // 00000000494C: 6804043C
	s_waitcnt vmcnt(0) lgkmcnt(0)                              // 000000004950: BF8C0070
	s_barrier                                                  // 000000004954: BF8A0000
	v_perm_b32 v184, v161, v160, s63                           // 000000004958: D1ED00B8 00FF41A1
	v_perm_b32 v185, v161, v160, s64                           // 000000004960: D1ED00B9 010341A1
	v_perm_b32 v186, v163, v162, s63                           // 000000004968: D1ED00BA 00FF45A3
	v_perm_b32 v187, v163, v162, s64                           // 000000004970: D1ED00BB 010345A3
	v_perm_b32 v188, v165, v164, s63                           // 000000004978: D1ED00BC 00FF49A5
	v_perm_b32 v189, v165, v164, s64                           // 000000004980: D1ED00BD 010349A5
	v_perm_b32 v190, v167, v166, s63                           // 000000004988: D1ED00BE 00FF4DA7
	v_perm_b32 v191, v167, v166, s64                           // 000000004990: D1ED00BF 01034DA7
	v_perm_b32 v192, v169, v168, s63                           // 000000004998: D1ED00C0 00FF51A9
	v_perm_b32 v193, v169, v168, s64                           // 0000000049A0: D1ED00C1 010351A9
	v_perm_b32 v194, v171, v170, s63                           // 0000000049A8: D1ED00C2 00FF55AB
	v_perm_b32 v195, v171, v170, s64                           // 0000000049B0: D1ED00C3 010355AB
	v_perm_b32 v196, v173, v172, s63                           // 0000000049B8: D1ED00C4 00FF59AD
	v_perm_b32 v197, v173, v172, s64                           // 0000000049C0: D1ED00C5 010359AD
	v_perm_b32 v198, v175, v174, s63                           // 0000000049C8: D1ED00C6 00FF5DAF
	v_perm_b32 v199, v175, v174, s64                           // 0000000049D0: D1ED00C7 01035DAF
	v_perm_b32 v200, v177, v176, s63                           // 0000000049D8: D1ED00C8 00FF61B1
	v_perm_b32 v201, v177, v176, s64                           // 0000000049E0: D1ED00C9 010361B1
	v_perm_b32 v202, v179, v178, s63                           // 0000000049E8: D1ED00CA 00FF65B3
	v_perm_b32 v203, v179, v178, s64                           // 0000000049F0: D1ED00CB 010365B3
	v_perm_b32 v204, v181, v180, s63                           // 0000000049F8: D1ED00CC 00FF69B5
	v_perm_b32 v205, v181, v180, s64                           // 000000004A00: D1ED00CD 010369B5
	v_perm_b32 v206, v183, v182, s63                           // 000000004A08: D1ED00CE 00FF6DB7
	v_perm_b32 v207, v183, v182, s64                           // 000000004A10: D1ED00CF 01036DB7
	ds_write_b32 v26, v184 offset:26112                        // 000000004A18: D81A6600 0000B81A
	ds_write_b32 v26, v185 offset:26120                        // 000000004A20: D81A6608 0000B91A
	ds_write_b32 v26, v186 offset:28192                        // 000000004A28: D81A6E20 0000BA1A
	ds_write_b32 v26, v187 offset:28200                        // 000000004A30: D81A6E28 0000BB1A
	ds_write_b32 v26, v188 offset:30272                        // 000000004A38: D81A7640 0000BC1A
	ds_write_b32 v26, v189 offset:30280                        // 000000004A40: D81A7648 0000BD1A
	ds_write_b32 v26, v190 offset:32352                        // 000000004A48: D81A7E60 0000BE1A
	ds_write_b32 v26, v191 offset:32360                        // 000000004A50: D81A7E68 0000BF1A
	ds_write_b32 v26, v192 offset:34432                        // 000000004A58: D81A8680 0000C01A
	ds_write_b32 v26, v193 offset:34440                        // 000000004A60: D81A8688 0000C11A
	ds_write_b32 v26, v194 offset:36512                        // 000000004A68: D81A8EA0 0000C21A
	ds_write_b32 v26, v195 offset:36520                        // 000000004A70: D81A8EA8 0000C31A
	ds_write_b32 v26, v196 offset:38592                        // 000000004A78: D81A96C0 0000C41A
	ds_write_b32 v26, v197 offset:38600                        // 000000004A80: D81A96C8 0000C51A
	ds_write_b32 v26, v198 offset:40672                        // 000000004A88: D81A9EE0 0000C61A
	ds_write_b32 v26, v199 offset:40680                        // 000000004A90: D81A9EE8 0000C71A
	ds_write_b32 v26, v200 offset:42752                        // 000000004A98: D81AA700 0000C81A
	ds_write_b32 v26, v201 offset:42760                        // 000000004AA0: D81AA708 0000C91A
	ds_write_b32 v26, v202 offset:44832                        // 000000004AA8: D81AAF20 0000CA1A
	ds_write_b32 v26, v203 offset:44840                        // 000000004AB0: D81AAF28 0000CB1A
	ds_write_b32 v26, v204 offset:46912                        // 000000004AB8: D81AB740 0000CC1A
	ds_write_b32 v26, v205 offset:46920                        // 000000004AC0: D81AB748 0000CD1A
	ds_write_b32 v26, v206 offset:48992                        // 000000004AC8: D81ABF60 0000CE1A
	ds_write_b32 v26, v207 offset:49000                        // 000000004AD0: D81ABF68 0000CF1A
	ds_write_b32 v11, v160                                     // 000000004AD8: D81A0000 0000A00B
	ds_write_b32 v11, v161 offset:1056                         // 000000004AE0: D81A0420 0000A10B
	ds_write_b32 v11, v162 offset:2176                         // 000000004AE8: D81A0880 0000A20B
	ds_write_b32 v11, v163 offset:3232                         // 000000004AF0: D81A0CA0 0000A30B
	ds_write_b32 v11, v164 offset:4352                         // 000000004AF8: D81A1100 0000A40B
	ds_write_b32 v11, v165 offset:5408                         // 000000004B00: D81A1520 0000A50B
	ds_write_b32 v11, v166 offset:6528                         // 000000004B08: D81A1980 0000A60B
	ds_write_b32 v11, v167 offset:7584                         // 000000004B10: D81A1DA0 0000A70B
	ds_write_b32 v11, v168 offset:8704                         // 000000004B18: D81A2200 0000A80B
	ds_write_b32 v11, v169 offset:9760                         // 000000004B20: D81A2620 0000A90B
	ds_write_b32 v11, v170 offset:10880                        // 000000004B28: D81A2A80 0000AA0B
	ds_write_b32 v11, v171 offset:11936                        // 000000004B30: D81A2EA0 0000AB0B
	ds_write_b32 v11, v172 offset:13056                        // 000000004B38: D81A3300 0000AC0B
	ds_write_b32 v11, v173 offset:14112                        // 000000004B40: D81A3720 0000AD0B
	ds_write_b32 v11, v174 offset:15232                        // 000000004B48: D81A3B80 0000AE0B
	ds_write_b32 v11, v175 offset:16288                        // 000000004B50: D81A3FA0 0000AF0B
	ds_write_b32 v11, v176 offset:17408                        // 000000004B58: D81A4400 0000B00B
	ds_write_b32 v11, v177 offset:18464                        // 000000004B60: D81A4820 0000B10B
	ds_write_b32 v11, v178 offset:19584                        // 000000004B68: D81A4C80 0000B20B
	ds_write_b32 v11, v179 offset:20640                        // 000000004B70: D81A50A0 0000B30B
	ds_write_b32 v11, v180 offset:21760                        // 000000004B78: D81A5500 0000B40B
	ds_write_b32 v11, v181 offset:22816                        // 000000004B80: D81A5920 0000B50B
	ds_write_b32 v11, v182 offset:23936                        // 000000004B88: D81A5D80 0000B60B
	ds_write_b32 v11, v183 offset:24992                        // 000000004B90: D81A61A0 0000B70B
	s_waitcnt lgkmcnt(0)                                       // 000000004B98: BF8CC07F
	s_barrier                                                  // 000000004B9C: BF8A0000
	buffer_load_dword v160, v212, s[16:19], 0 idxen            // 000000004BA0: E0502000 8004A0D4
	buffer_load_dword v161, v213, s[16:19], 0 idxen            // 000000004BA8: E0502000 8004A1D5
	buffer_load_dword v162, v212, s[16:19], 0 idxen offset:128 // 000000004BB0: E0502080 8004A2D4
	buffer_load_dword v163, v213, s[16:19], 0 idxen offset:128 // 000000004BB8: E0502080 8004A3D5
	v_mov_b32_e32 v164, 0                                      // 000000004BC0: 7F480280
	s_mov_b64 exec, s[88:89]                                   // 000000004BC4: BEFE0158
	buffer_load_dword v164, v212, s[16:19], 0 idxen offset:256 // 000000004BC8: E0502100 8004A4D4
	s_mov_b64 exec, s[86:87]                                   // 000000004BD0: BEFE0156
	v_mov_b32_e32 v165, 0                                      // 000000004BD4: 7F4A0280
	s_mov_b64 exec, s[88:89]                                   // 000000004BD8: BEFE0158
	buffer_load_dword v165, v213, s[16:19], 0 idxen offset:256 // 000000004BDC: E0502100 8004A5D5
	s_mov_b64 exec, s[86:87]                                   // 000000004BE4: BEFE0156
	s_mul_i32 s60, 4, s7                                       // 000000004BE8: 923C0784
	v_add_u32_e32 v212, s60, v212                              // 000000004BEC: 69A9A83C
	v_add_u32_e32 v213, s60, v213                              // 000000004BF0: 69ABAA3C
	buffer_load_dword v166, v212, s[16:19], 0 idxen            // 000000004BF4: E0502000 8004A6D4
	buffer_load_dword v167, v213, s[16:19], 0 idxen            // 000000004BFC: E0502000 8004A7D5
	buffer_load_dword v168, v212, s[16:19], 0 idxen offset:128 // 000000004C04: E0502080 8004A8D4
	buffer_load_dword v169, v213, s[16:19], 0 idxen offset:128 // 000000004C0C: E0502080 8004A9D5
	v_mov_b32_e32 v170, 0                                      // 000000004C14: 7F540280
	s_mov_b64 exec, s[88:89]                                   // 000000004C18: BEFE0158
	buffer_load_dword v170, v212, s[16:19], 0 idxen offset:256 // 000000004C1C: E0502100 8004AAD4
	s_mov_b64 exec, s[86:87]                                   // 000000004C24: BEFE0156
	v_mov_b32_e32 v171, 0                                      // 000000004C28: 7F560280
	s_mov_b64 exec, s[88:89]                                   // 000000004C2C: BEFE0158
	buffer_load_dword v171, v213, s[16:19], 0 idxen offset:256 // 000000004C30: E0502100 8004ABD5
	s_mov_b64 exec, s[86:87]                                   // 000000004C38: BEFE0156
	s_mul_i32 s60, 4, s7                                       // 000000004C3C: 923C0784
	v_add_u32_e32 v212, s60, v212                              // 000000004C40: 69A9A83C
	v_add_u32_e32 v213, s60, v213                              // 000000004C44: 69ABAA3C
	buffer_load_dword v172, v212, s[16:19], 0 idxen            // 000000004C48: E0502000 8004ACD4
	buffer_load_dword v173, v213, s[16:19], 0 idxen            // 000000004C50: E0502000 8004ADD5
	buffer_load_dword v174, v212, s[16:19], 0 idxen offset:128 // 000000004C58: E0502080 8004AED4
	buffer_load_dword v175, v213, s[16:19], 0 idxen offset:128 // 000000004C60: E0502080 8004AFD5
	v_mov_b32_e32 v176, 0                                      // 000000004C68: 7F600280
	s_mov_b64 exec, s[88:89]                                   // 000000004C6C: BEFE0158
	buffer_load_dword v176, v212, s[16:19], 0 idxen offset:256 // 000000004C70: E0502100 8004B0D4
	s_mov_b64 exec, s[86:87]                                   // 000000004C78: BEFE0156
	v_mov_b32_e32 v177, 0                                      // 000000004C7C: 7F620280
	s_mov_b64 exec, s[88:89]                                   // 000000004C80: BEFE0158
	buffer_load_dword v177, v213, s[16:19], 0 idxen offset:256 // 000000004C84: E0502100 8004B1D5
	s_mov_b64 exec, s[86:87]                                   // 000000004C8C: BEFE0156
	s_mul_i32 s60, 4, s7                                       // 000000004C90: 923C0784
	v_add_u32_e32 v212, s60, v212                              // 000000004C94: 69A9A83C
	v_add_u32_e32 v213, s60, v213                              // 000000004C98: 69ABAA3C
	buffer_load_dword v178, v212, s[16:19], 0 idxen            // 000000004C9C: E0502000 8004B2D4
	buffer_load_dword v179, v213, s[16:19], 0 idxen            // 000000004CA4: E0502000 8004B3D5
	buffer_load_dword v180, v212, s[16:19], 0 idxen offset:128 // 000000004CAC: E0502080 8004B4D4
	buffer_load_dword v181, v213, s[16:19], 0 idxen offset:128 // 000000004CB4: E0502080 8004B5D5
	v_mov_b32_e32 v182, 0                                      // 000000004CBC: 7F6C0280
	s_mov_b64 exec, s[88:89]                                   // 000000004CC0: BEFE0158
	buffer_load_dword v182, v212, s[16:19], 0 idxen offset:256 // 000000004CC4: E0502100 8004B6D4
	s_mov_b64 exec, s[86:87]                                   // 000000004CCC: BEFE0156
	v_mov_b32_e32 v183, 0                                      // 000000004CD0: 7F6E0280
	s_mov_b64 exec, s[88:89]                                   // 000000004CD4: BEFE0158
	buffer_load_dword v183, v213, s[16:19], 0 idxen offset:256 // 000000004CD8: E0502100 8004B7D5
	s_mov_b64 exec, s[86:87]                                   // 000000004CE0: BEFE0156
	s_mul_i32 s60, 4, s7                                       // 000000004CE4: 923C0784
	v_add_u32_e32 v212, s60, v212                              // 000000004CE8: 69A9A83C
	v_add_u32_e32 v213, s60, v213                              // 000000004CEC: 69ABAA3C
	ds_read_b64 a[24:25], v23 offset:26112                     // 000000004CF0: DAEC6600 18000017
	ds_read_b64 a[26:27], v23 offset:26632                     // 000000004CF8: DAEC6808 1A000017
	ds_read_b64 a[28:29], v23 offset:27152                     // 000000004D00: DAEC6A10 1C000017
	ds_read_b64 a[30:31], v23 offset:26368                     // 000000004D08: DAEC6700 1E000017
	ds_read_b64 a[32:33], v23 offset:26888                     // 000000004D10: DAEC6908 20000017
	ds_read_b64 a[34:35], v23 offset:27408                     // 000000004D18: DAEC6B10 22000017
	ds_read_b64 a[36:37], v23 offset:38592                     // 000000004D20: DAEC96C0 24000017
	ds_read_b64 a[38:39], v23 offset:39112                     // 000000004D28: DAEC98C8 26000017
	ds_read_b64 a[40:41], v23 offset:39632                     // 000000004D30: DAEC9AD0 28000017
	ds_read_b64 a[42:43], v23 offset:38848                     // 000000004D38: DAEC97C0 2A000017
	ds_read_b64 a[44:45], v23 offset:39368                     // 000000004D40: DAEC99C8 2C000017
	ds_read_b64 a[46:47], v23 offset:39888                     // 000000004D48: DAEC9BD0 2E000017
	ds_read_b128 a[0:3], v22                                   // 000000004D50: DBFE0000 00000016
	ds_read_b128 a[4:7], v22 offset:512                        // 000000004D58: DBFE0200 04000016
	ds_read_b128 a[8:11], v22 offset:2176                      // 000000004D60: DBFE0880 08000016
	ds_read_b128 a[12:15], v22 offset:2688                     // 000000004D68: DBFE0A80 0C000016
	ds_read_b128 a[16:19], v22 offset:4352                     // 000000004D70: DBFE1100 10000016
	ds_read_b128 a[20:23], v22 offset:4864                     // 000000004D78: DBFE1300 14000016
	s_waitcnt vmcnt(0) lgkmcnt(0)                              // 000000004D80: BF8C0070
	s_barrier                                                  // 000000004D84: BF8A0000
	ds_write_b32 v11, v160                                     // 000000004D88: D81A0000 0000A00B
	ds_write_b32 v11, v161 offset:1056                         // 000000004D90: D81A0420 0000A10B
	ds_write_b32 v11, v162 offset:2176                         // 000000004D98: D81A0880 0000A20B
	ds_write_b32 v11, v163 offset:3232                         // 000000004DA0: D81A0CA0 0000A30B
	ds_write_b32 v11, v164 offset:4352                         // 000000004DA8: D81A1100 0000A40B
	ds_write_b32 v11, v165 offset:5408                         // 000000004DB0: D81A1520 0000A50B
	ds_write_b32 v11, v166 offset:6528                         // 000000004DB8: D81A1980 0000A60B
	ds_write_b32 v11, v167 offset:7584                         // 000000004DC0: D81A1DA0 0000A70B
	ds_write_b32 v11, v168 offset:8704                         // 000000004DC8: D81A2200 0000A80B
	ds_write_b32 v11, v169 offset:9760                         // 000000004DD0: D81A2620 0000A90B
	ds_write_b32 v11, v170 offset:10880                        // 000000004DD8: D81A2A80 0000AA0B
	ds_write_b32 v11, v171 offset:11936                        // 000000004DE0: D81A2EA0 0000AB0B
	ds_write_b32 v11, v172 offset:13056                        // 000000004DE8: D81A3300 0000AC0B
	ds_write_b32 v11, v173 offset:14112                        // 000000004DF0: D81A3720 0000AD0B
	ds_write_b32 v11, v174 offset:15232                        // 000000004DF8: D81A3B80 0000AE0B
	ds_write_b32 v11, v175 offset:16288                        // 000000004E00: D81A3FA0 0000AF0B
	ds_write_b32 v11, v176 offset:17408                        // 000000004E08: D81A4400 0000B00B
	ds_write_b32 v11, v177 offset:18464                        // 000000004E10: D81A4820 0000B10B
	ds_write_b32 v11, v178 offset:19584                        // 000000004E18: D81A4C80 0000B20B
	ds_write_b32 v11, v179 offset:20640                        // 000000004E20: D81A50A0 0000B30B
	ds_write_b32 v11, v180 offset:21760                        // 000000004E28: D81A5500 0000B40B
	ds_write_b32 v11, v181 offset:22816                        // 000000004E30: D81A5920 0000B50B
	ds_write_b32 v11, v182 offset:23936                        // 000000004E38: D81A5D80 0000B60B
	ds_write_b32 v11, v183 offset:24992                        // 000000004E40: D81A61A0 0000B70B
	s_mov_b32 s71, s5                                          // 000000004E48: BEC70005
	v_lshrrev_b32_e32 v28, 4, v0                               // 000000004E4C: 20380084
	v_and_b32_e32 v29, 1, v28                                  // 000000004E50: 263A3881
	v_lshlrev_b32_e32 v29, 1, v29                              // 000000004E54: 243A3A81
	v_mul_i32_i24_e32 v29, s71, v29                            // 000000004E58: 0C3A3A47
	v_and_b32_e32 v30, 2, v28                                  // 000000004E5C: 263C3882
	v_lshlrev_b32_e32 v30, 5, v30                              // 000000004E60: 243C3C85
	v_add_u32_e32 v29, v30, v29                                // 000000004E64: 683A3B1E
	v_and_b32_e32 v28, 15, v0                                  // 000000004E68: 2638008F
	v_lshlrev_b32_e32 v28, 2, v28                              // 000000004E6C: 24383882
	v_add_u32_e32 v1, v28, v29                                 // 000000004E70: 68023B1C
	s_mul_i32 s60, s46, s71                                    // 000000004E74: 923C472E
	s_mul_i32 s60, s60, 4                                      // 000000004E78: 923C843C
	v_add_u32_e32 v1, s60, v1                                  // 000000004E7C: 6802023C
	v_add_u32_e32 v2, s71, v1                                  // 000000004E80: 68040247
	s_mov_b32 s71, s51                                         // 000000004E84: BEC70033
	v_lshrrev_b32_e32 v28, 4, v0                               // 000000004E88: 20380084
	v_and_b32_e32 v29, 1, v28                                  // 000000004E8C: 263A3881
	v_lshlrev_b32_e32 v29, 1, v29                              // 000000004E90: 243A3A81
	v_mul_i32_i24_e32 v29, s71, v29                            // 000000004E94: 0C3A3A47
	v_and_b32_e32 v30, 2, v28                                  // 000000004E98: 263C3882
	v_lshlrev_b32_e32 v30, 5, v30                              // 000000004E9C: 243C3C85
	v_add_u32_e32 v29, v30, v29                                // 000000004EA0: 683A3B1E
	v_and_b32_e32 v28, 15, v0                                  // 000000004EA4: 2638008F
	v_lshlrev_b32_e32 v28, 2, v28                              // 000000004EA8: 24383882
	v_add_u32_e32 v212, v28, v29                               // 000000004EAC: 69A83B1C
	s_mul_i32 s60, s46, s71                                    // 000000004EB0: 923C472E
	s_mul_i32 s60, s60, 4                                      // 000000004EB4: 923C843C
	v_add_u32_e32 v212, s60, v212                              // 000000004EB8: 69A9A83C
	v_add_u32_e32 v213, s71, v212                              // 000000004EBC: 69ABA847
	v_lshrrev_b32_e32 v1, 2, v1                                // 000000004EC0: 20020282
	v_lshrrev_b32_e32 v2, 2, v2                                // 000000004EC4: 20040482
	v_lshrrev_b32_e32 v212, 2, v212                            // 000000004EC8: 21A9A882
	v_lshrrev_b32_e32 v213, 2, v213                            // 000000004ECC: 21ABAA82
	buffer_load_dword v32, v1, s[8:11], 0 idxen                // 000000004ED0: E0502000 80022001
	buffer_load_dword v33, v2, s[8:11], 0 idxen                // 000000004ED8: E0502000 80022102
	buffer_load_dword v34, v1, s[8:11], 0 idxen offset:128     // 000000004EE0: E0502080 80022201
	buffer_load_dword v35, v2, s[8:11], 0 idxen offset:128     // 000000004EE8: E0502080 80022302
	v_mov_b32_e32 v36, 0                                       // 000000004EF0: 7E480280
	s_mov_b64 exec, s[88:89]                                   // 000000004EF4: BEFE0158
	buffer_load_dword v36, v1, s[8:11], 0 idxen offset:256     // 000000004EF8: E0502100 80022401
	s_mov_b64 exec, s[86:87]                                   // 000000004F00: BEFE0156
	v_mov_b32_e32 v37, 0                                       // 000000004F04: 7E4A0280
	s_mov_b64 exec, s[88:89]                                   // 000000004F08: BEFE0158
	buffer_load_dword v37, v2, s[8:11], 0 idxen offset:256     // 000000004F0C: E0502100 80022502
	s_mov_b64 exec, s[86:87]                                   // 000000004F14: BEFE0156
	buffer_load_dword v44, v212, s[20:23], 0 idxen             // 000000004F18: E0502000 80052CD4
	buffer_load_dword v45, v213, s[20:23], 0 idxen             // 000000004F20: E0502000 80052DD5
	buffer_load_dword v46, v212, s[20:23], 0 idxen offset:128  // 000000004F28: E0502080 80052ED4
	buffer_load_dword v47, v213, s[20:23], 0 idxen offset:128  // 000000004F30: E0502080 80052FD5
	v_mov_b32_e32 v48, 0                                       // 000000004F38: 7E600280
	s_mov_b64 exec, s[88:89]                                   // 000000004F3C: BEFE0158
	buffer_load_dword v48, v212, s[20:23], 0 idxen offset:256  // 000000004F40: E0502100 800530D4
	s_mov_b64 exec, s[86:87]                                   // 000000004F48: BEFE0156
	v_mov_b32_e32 v49, 0                                       // 000000004F4C: 7E620280
	s_mov_b64 exec, s[88:89]                                   // 000000004F50: BEFE0158
	buffer_load_dword v49, v213, s[20:23], 0 idxen offset:256  // 000000004F54: E0502100 800531D5
	s_mov_b64 exec, s[86:87]                                   // 000000004F5C: BEFE0156
	s_waitcnt lgkmcnt(0)                                       // 000000004F60: BF8CC07F
	s_barrier                                                  // 000000004F64: BF8A0000
	ds_read_b128 a[48:51], v22                                 // 000000004F68: DBFE0000 30000016
	ds_read_b128 a[52:55], v22 offset:512                      // 000000004F70: DBFE0200 34000016
	ds_read_b128 a[56:59], v22 offset:2176                     // 000000004F78: DBFE0880 38000016
	ds_read_b128 a[60:63], v22 offset:2688                     // 000000004F80: DBFE0A80 3C000016
	ds_read_b128 a[64:67], v22 offset:4352                     // 000000004F88: DBFE1100 40000016
	ds_read_b128 a[68:71], v22 offset:4864                     // 000000004F90: DBFE1300 44000016
	v_add_u32_e32 v1, s68, v1                                  // 000000004F98: 68020244
	v_add_u32_e32 v2, s68, v2                                  // 000000004F9C: 68040444
	v_add_u32_e32 v212, s97, v212                              // 000000004FA0: 69A9A861
	v_add_u32_e32 v213, s97, v213                              // 000000004FA4: 69ABAA61
	buffer_load_dword v38, v1, s[8:11], 0 idxen                // 000000004FA8: E0502000 80022601
	buffer_load_dword v39, v2, s[8:11], 0 idxen                // 000000004FB0: E0502000 80022702
	buffer_load_dword v40, v1, s[8:11], 0 idxen offset:128     // 000000004FB8: E0502080 80022801
	buffer_load_dword v41, v2, s[8:11], 0 idxen offset:128     // 000000004FC0: E0502080 80022902
	v_mov_b32_e32 v42, 0                                       // 000000004FC8: 7E540280
	s_mov_b64 exec, s[88:89]                                   // 000000004FCC: BEFE0158
	buffer_load_dword v42, v1, s[8:11], 0 idxen offset:256     // 000000004FD0: E0502100 80022A01
	s_mov_b64 exec, s[86:87]                                   // 000000004FD8: BEFE0156
	v_mov_b32_e32 v43, 0                                       // 000000004FDC: 7E560280
	s_mov_b64 exec, s[88:89]                                   // 000000004FE0: BEFE0158
	buffer_load_dword v43, v2, s[8:11], 0 idxen offset:256     // 000000004FE4: E0502100 80022B02
	s_mov_b64 exec, s[86:87]                                   // 000000004FEC: BEFE0156
	buffer_load_dword v50, v212, s[20:23], 0 idxen             // 000000004FF0: E0502000 800532D4
	buffer_load_dword v51, v213, s[20:23], 0 idxen             // 000000004FF8: E0502000 800533D5
	buffer_load_dword v52, v212, s[20:23], 0 idxen offset:128  // 000000005000: E0502080 800534D4
	buffer_load_dword v53, v213, s[20:23], 0 idxen offset:128  // 000000005008: E0502080 800535D5
	v_mov_b32_e32 v54, 0                                       // 000000005010: 7E6C0280
	s_mov_b64 exec, s[88:89]                                   // 000000005014: BEFE0158
	buffer_load_dword v54, v212, s[20:23], 0 idxen offset:256  // 000000005018: E0502100 800536D4
	s_mov_b64 exec, s[86:87]                                   // 000000005020: BEFE0156
	v_mov_b32_e32 v55, 0                                       // 000000005024: 7E6E0280
	s_mov_b64 exec, s[88:89]                                   // 000000005028: BEFE0158
	buffer_load_dword v55, v213, s[20:23], 0 idxen offset:256  // 00000000502C: E0502100 800537D5
	s_mov_b64 exec, s[86:87]                                   // 000000005034: BEFE0156
	v_add_u32_e32 v1, s68, v1                                  // 000000005038: 68020244
	v_add_u32_e32 v2, s68, v2                                  // 00000000503C: 68040444
	v_add_u32_e32 v212, s97, v212                              // 000000005040: 69A9A861
	v_add_u32_e32 v213, s97, v213                              // 000000005044: 69ABAA61
	s_waitcnt vmcnt(12) lgkmcnt(0)                             // 000000005048: BF8C007C
	s_barrier                                                  // 00000000504C: BF8A0000
	buffer_load_dword v9, s[24:27], 0 idxen lds                // 000000005050: E0512000 80060009
	s_mov_b32 m0, s77                                          // 000000005058: BEFC004D
	v_add_u32_e32 v9, s69, v9                                  // 00000000505C: 68121245
	v_perm_b32 v68, v33, v32, s63                              // 000000005060: D1ED0044 00FE4121
	v_perm_b32 v69, v33, v32, s64                              // 000000005068: D1ED0045 01024121
	v_perm_b32 v70, v35, v34, s63                              // 000000005070: D1ED0046 00FE4523
	v_perm_b32 v71, v35, v34, s64                              // 000000005078: D1ED0047 01024523
	v_perm_b32 v72, v37, v36, s63                              // 000000005080: D1ED0048 00FE4925
	v_perm_b32 v73, v37, v36, s64                              // 000000005088: D1ED0049 01024925
	ds_write_b32 v13, v68 offset:6528                          // 000000005090: D81A1980 0000440D
	ds_write_b32 v13, v69 offset:7584                          // 000000005098: D81A1DA0 0000450D
	ds_write_b32 v13, v70 offset:8704                          // 0000000050A0: D81A2200 0000460D
	ds_write_b32 v13, v71 offset:9760                          // 0000000050A8: D81A2620 0000470D
	ds_write_b32 v13, v72 offset:10880                         // 0000000050B0: D81A2A80 0000480D
	ds_write_b32 v13, v73 offset:11936                         // 0000000050B8: D81A2EA0 0000490D
	ds_write_b32 v11, v32                                      // 0000000050C0: D81A0000 0000200B
	ds_write_b32 v11, v33 offset:1056                          // 0000000050C8: D81A0420 0000210B
	ds_write_b32 v11, v34 offset:2176                          // 0000000050D0: D81A0880 0000220B
	ds_write_b32 v11, v35 offset:3232                          // 0000000050D8: D81A0CA0 0000230B
	ds_write_b32 v11, v36 offset:4352                          // 0000000050E0: D81A1100 0000240B
	ds_write_b32 v11, v37 offset:5408                          // 0000000050E8: D81A1520 0000250B
	buffer_load_dword v9, s[24:27], 0 idxen lds                // 0000000050F0: E0512000 80060009
	s_mov_b32 m0, s76                                          // 0000000050F8: BEFC004C
	v_add_u32_e32 v9, s69, v9                                  // 0000000050FC: 68121245
	v_perm_b32 v74, v45, v44, s63                              // 000000005100: D1ED004A 00FE592D
	v_perm_b32 v75, v45, v44, s64                              // 000000005108: D1ED004B 0102592D
	v_perm_b32 v76, v47, v46, s63                              // 000000005110: D1ED004C 00FE5D2F
	v_perm_b32 v77, v47, v46, s64                              // 000000005118: D1ED004D 01025D2F
	v_perm_b32 v78, v49, v48, s63                              // 000000005120: D1ED004E 00FE6131
	v_perm_b32 v79, v49, v48, s64                              // 000000005128: D1ED004F 01026131
	ds_write_b32 v13, v74 offset:19584                         // 000000005130: D81A4C80 00004A0D
	ds_write_b32 v13, v75 offset:20640                         // 000000005138: D81A50A0 00004B0D
	ds_write_b32 v13, v76 offset:21760                         // 000000005140: D81A5500 00004C0D
	ds_write_b32 v13, v77 offset:22816                         // 000000005148: D81A5920 00004D0D
	ds_write_b32 v13, v78 offset:23936                         // 000000005150: D81A5D80 00004E0D
	ds_write_b32 v13, v79 offset:24992                         // 000000005158: D81A61A0 00004F0D
	ds_write_b32 v11, v44 offset:13056                         // 000000005160: D81A3300 00002C0B
	ds_write_b32 v11, v45 offset:14112                         // 000000005168: D81A3720 00002D0B
	ds_write_b32 v11, v46 offset:15232                         // 000000005170: D81A3B80 00002E0B
	ds_write_b32 v11, v47 offset:16288                         // 000000005178: D81A3FA0 00002F0B
	ds_write_b32 v11, v48 offset:17408                         // 000000005180: D81A4400 0000300B
	ds_write_b32 v11, v49 offset:18464                         // 000000005188: D81A4820 0000310B
	s_waitcnt vmcnt(1) lgkmcnt(0)                              // 000000005190: BF8C0071
	s_barrier                                                  // 000000005194: BF8A0000
	ds_read_b128 a[72:75], v10                                 // 000000005198: DBFE0000 4800000A
	ds_read_b128 a[76:79], v10 offset:512                      // 0000000051A0: DBFE0200 4C00000A
	ds_read_b128 a[80:83], v10 offset:2176                     // 0000000051A8: DBFE0880 5000000A
	ds_read_b128 a[84:87], v10 offset:2688                     // 0000000051B0: DBFE0A80 5400000A
	ds_read_b128 a[88:91], v10 offset:4352                     // 0000000051B8: DBFE1100 5800000A
	ds_read_b128 a[92:95], v10 offset:4864                     // 0000000051C0: DBFE1300 5C00000A
	ds_read_b128 v[80:83], v10 offset:13056                    // 0000000051C8: D9FE3300 5000000A
	ds_read_b128 v[84:87], v10 offset:13568                    // 0000000051D0: D9FE3500 5400000A
	ds_read_b128 v[88:91], v10 offset:15232                    // 0000000051D8: D9FE3B80 5800000A
	ds_read_b128 v[92:95], v10 offset:15744                    // 0000000051E0: D9FE3D80 5C00000A
	ds_read_b128 v[96:99], v10 offset:17408                    // 0000000051E8: D9FE4400 6000000A
	ds_read_b128 v[100:103], v10 offset:17920                  // 0000000051F0: D9FE4600 6400000A
	ds_read_b32 v128, v21 offset:40704                         // 0000000051F8: D86C9F00 80000015
	ds_read_b32 v158, v21 offset:40960                         // 000000005200: D86CA000 9E000015
	v_accvgpr_write_b32 a96, 0                                 // 000000005208: D3D94060 18000080
	v_mov_b32_e32 v160, 0                                      // 000000005210: 7F400280
	v_accvgpr_write_b32 a97, 0                                 // 000000005214: D3D94061 18000080
	v_mov_b32_e32 v161, 0                                      // 00000000521C: 7F420280
	v_accvgpr_write_b32 a98, 0                                 // 000000005220: D3D94062 18000080
	v_mov_b32_e32 v162, 0                                      // 000000005228: 7F440280
	v_accvgpr_write_b32 a99, 0                                 // 00000000522C: D3D94063 18000080
	v_mov_b32_e32 v163, 0                                      // 000000005234: 7F460280
	v_accvgpr_write_b32 a100, 0                                // 000000005238: D3D94064 18000080
	v_mov_b32_e32 v164, 0                                      // 000000005240: 7F480280
	v_accvgpr_write_b32 a101, 0                                // 000000005244: D3D94065 18000080
	v_mov_b32_e32 v165, 0                                      // 00000000524C: 7F4A0280
	v_accvgpr_write_b32 a102, 0                                // 000000005250: D3D94066 18000080
	v_mov_b32_e32 v166, 0                                      // 000000005258: 7F4C0280
	v_accvgpr_write_b32 a103, 0                                // 00000000525C: D3D94067 18000080
	v_mov_b32_e32 v167, 0                                      // 000000005264: 7F4E0280
	v_accvgpr_write_b32 a104, 0                                // 000000005268: D3D94068 18000080
	v_mov_b32_e32 v168, 0                                      // 000000005270: 7F500280
	v_accvgpr_write_b32 a105, 0                                // 000000005274: D3D94069 18000080
	v_mov_b32_e32 v169, 0                                      // 00000000527C: 7F520280
	v_accvgpr_write_b32 a106, 0                                // 000000005280: D3D9406A 18000080
	v_mov_b32_e32 v170, 0                                      // 000000005288: 7F540280
	v_accvgpr_write_b32 a107, 0                                // 00000000528C: D3D9406B 18000080
	v_mov_b32_e32 v171, 0                                      // 000000005294: 7F560280
	v_accvgpr_write_b32 a108, 0                                // 000000005298: D3D9406C 18000080
	v_mov_b32_e32 v172, 0                                      // 0000000052A0: 7F580280
	v_accvgpr_write_b32 a109, 0                                // 0000000052A4: D3D9406D 18000080
	v_mov_b32_e32 v173, 0                                      // 0000000052AC: 7F5A0280
	v_accvgpr_write_b32 a110, 0                                // 0000000052B0: D3D9406E 18000080
	v_mov_b32_e32 v174, 0                                      // 0000000052B8: 7F5C0280
	v_accvgpr_write_b32 a111, 0                                // 0000000052BC: D3D9406F 18000080
	v_mov_b32_e32 v175, 0                                      // 0000000052C4: 7F5E0280
	v_accvgpr_write_b32 a112, 0                                // 0000000052C8: D3D94070 18000080
	v_mov_b32_e32 v176, 0                                      // 0000000052D0: 7F600280
	v_accvgpr_write_b32 a113, 0                                // 0000000052D4: D3D94071 18000080
	v_mov_b32_e32 v177, 0                                      // 0000000052DC: 7F620280
	v_accvgpr_write_b32 a114, 0                                // 0000000052E0: D3D94072 18000080
	v_mov_b32_e32 v178, 0                                      // 0000000052E8: 7F640280
	v_accvgpr_write_b32 a115, 0                                // 0000000052EC: D3D94073 18000080
	v_mov_b32_e32 v179, 0                                      // 0000000052F4: 7F660280
	v_accvgpr_write_b32 a116, 0                                // 0000000052F8: D3D94074 18000080
	v_mov_b32_e32 v180, 0                                      // 000000005300: 7F680280
	v_accvgpr_write_b32 a117, 0                                // 000000005304: D3D94075 18000080
	v_mov_b32_e32 v181, 0                                      // 00000000530C: 7F6A0280
	v_accvgpr_write_b32 a118, 0                                // 000000005310: D3D94076 18000080
	v_mov_b32_e32 v182, 0                                      // 000000005318: 7F6C0280
	v_accvgpr_write_b32 a119, 0                                // 00000000531C: D3D94077 18000080
	v_mov_b32_e32 v183, 0                                      // 000000005324: 7F6E0280
	v_accvgpr_write_b32 a120, 0                                // 000000005328: D3D94078 18000080
	v_mov_b32_e32 v184, 0                                      // 000000005330: 7F700280
	v_accvgpr_write_b32 a121, 0                                // 000000005334: D3D94079 18000080
	v_mov_b32_e32 v185, 0                                      // 00000000533C: 7F720280
	v_accvgpr_write_b32 a122, 0                                // 000000005340: D3D9407A 18000080
	v_mov_b32_e32 v186, 0                                      // 000000005348: 7F740280
	v_accvgpr_write_b32 a123, 0                                // 00000000534C: D3D9407B 18000080
	v_mov_b32_e32 v187, 0                                      // 000000005354: 7F760280
	v_accvgpr_write_b32 a124, 0                                // 000000005358: D3D9407C 18000080
	v_mov_b32_e32 v188, 0                                      // 000000005360: 7F780280
	v_accvgpr_write_b32 a125, 0                                // 000000005364: D3D9407D 18000080
	v_mov_b32_e32 v189, 0                                      // 00000000536C: 7F7A0280
	v_accvgpr_write_b32 a126, 0                                // 000000005370: D3D9407E 18000080
	v_mov_b32_e32 v190, 0                                      // 000000005378: 7F7C0280
	v_accvgpr_write_b32 a127, 0                                // 00000000537C: D3D9407F 18000080
	v_mov_b32_e32 v191, 0                                      // 000000005384: 7F7E0280
	v_accvgpr_write_b32 a128, 0                                // 000000005388: D3D94080 18000080
	v_mov_b32_e32 v192, 0                                      // 000000005390: 7F800280
	v_accvgpr_write_b32 a129, 0                                // 000000005394: D3D94081 18000080
	v_mov_b32_e32 v193, 0                                      // 00000000539C: 7F820280
	v_accvgpr_write_b32 a130, 0                                // 0000000053A0: D3D94082 18000080
	v_mov_b32_e32 v194, 0                                      // 0000000053A8: 7F840280
	v_accvgpr_write_b32 a131, 0                                // 0000000053AC: D3D94083 18000080
	v_mov_b32_e32 v195, 0                                      // 0000000053B4: 7F860280
	v_accvgpr_write_b32 a132, 0                                // 0000000053B8: D3D94084 18000080
	v_mov_b32_e32 v196, 0                                      // 0000000053C0: 7F880280
	v_accvgpr_write_b32 a133, 0                                // 0000000053C4: D3D94085 18000080
	v_mov_b32_e32 v197, 0                                      // 0000000053CC: 7F8A0280
	v_accvgpr_write_b32 a134, 0                                // 0000000053D0: D3D94086 18000080
	v_mov_b32_e32 v198, 0                                      // 0000000053D8: 7F8C0280
	v_accvgpr_write_b32 a135, 0                                // 0000000053DC: D3D94087 18000080
	v_mov_b32_e32 v199, 0                                      // 0000000053E4: 7F8E0280
	v_accvgpr_write_b32 a136, 0                                // 0000000053E8: D3D94088 18000080
	v_mov_b32_e32 v200, 0                                      // 0000000053F0: 7F900280
	v_accvgpr_write_b32 a137, 0                                // 0000000053F4: D3D94089 18000080
	v_mov_b32_e32 v201, 0                                      // 0000000053FC: 7F920280
	v_accvgpr_write_b32 a138, 0                                // 000000005400: D3D9408A 18000080
	v_mov_b32_e32 v202, 0                                      // 000000005408: 7F940280
	v_accvgpr_write_b32 a139, 0                                // 00000000540C: D3D9408B 18000080
	v_mov_b32_e32 v203, 0                                      // 000000005414: 7F960280
	v_accvgpr_write_b32 a140, 0                                // 000000005418: D3D9408C 18000080
	v_mov_b32_e32 v204, 0                                      // 000000005420: 7F980280
	v_accvgpr_write_b32 a141, 0                                // 000000005424: D3D9408D 18000080
	v_mov_b32_e32 v205, 0                                      // 00000000542C: 7F9A0280
	v_accvgpr_write_b32 a142, 0                                // 000000005430: D3D9408E 18000080
	v_mov_b32_e32 v206, 0                                      // 000000005438: 7F9C0280
	v_accvgpr_write_b32 a143, 0                                // 00000000543C: D3D9408F 18000080
	v_mov_b32_e32 v207, 0                                      // 000000005444: 7F9E0280
	v_mov_b32_e32 v144, 0                                      // 000000005448: 7F200280
	v_mov_b32_e32 v145, 0                                      // 00000000544C: 7F220280
	v_mov_b32_e32 v146, 0                                      // 000000005450: 7F240280
	v_mov_b32_e32 v147, 0                                      // 000000005454: 7F260280
	v_mov_b32_e32 v148, 0                                      // 000000005458: 7F280280
	v_mov_b32_e32 v149, 0                                      // 00000000545C: 7F2A0280
	v_mov_b32_e32 v150, 0                                      // 000000005460: 7F2C0280
	v_mov_b32_e32 v151, 0                                      // 000000005464: 7F2E0280
	v_mov_b32_e32 v152, 0                                      // 000000005468: 7F300280
	v_mov_b32_e32 v153, 0                                      // 00000000546C: 7F320280
	v_mov_b32_e32 v154, 0                                      // 000000005470: 7F340280
	v_mov_b32_e32 v155, 0                                      // 000000005474: 7F360280
	v_mov_b32_e32 v132, 0                                      // 000000005478: 7F080280
	v_mov_b32_e32 v133, 0                                      // 00000000547C: 7F0A0280
	v_mov_b32_e32 v134, 0                                      // 000000005480: 7F0C0280
	v_mov_b32_e32 v135, 0                                      // 000000005484: 7F0E0280
	v_mov_b32_e32 v136, 0                                      // 000000005488: 7F100280
	v_mov_b32_e32 v137, 0                                      // 00000000548C: 7F120280
	v_mov_b32_e32 v138, 0                                      // 000000005490: 7F140280
	v_mov_b32_e32 v139, 0                                      // 000000005494: 7F160280
	v_mov_b32_e32 v140, 0                                      // 000000005498: 7F180280
	v_mov_b32_e32 v141, 0                                      // 00000000549C: 7F1A0280
	v_mov_b32_e32 v142, 0                                      // 0000000054A0: 7F1C0280
	v_mov_b32_e32 v143, 0                                      // 0000000054A4: 7F1E0280
	s_waitcnt lgkmcnt(0)                                       // 0000000054A8: BF8CC07F
	s_barrier                                                  // 0000000054AC: BF8A0000
	buffer_load_dword v32, v1, s[8:11], 0 idxen                // 0000000054B0: E0502000 80022001
	buffer_load_dword v33, v2, s[8:11], 0 idxen                // 0000000054B8: E0502000 80022102
	buffer_load_dword v34, v1, s[8:11], 0 idxen offset:128     // 0000000054C0: E0502080 80022201
	buffer_load_dword v35, v2, s[8:11], 0 idxen offset:128     // 0000000054C8: E0502080 80022302
	v_mov_b32_e32 v36, 0                                       // 0000000054D0: 7E480280
	s_mov_b64 exec, s[88:89]                                   // 0000000054D4: BEFE0158
	buffer_load_dword v36, v1, s[8:11], 0 idxen offset:256     // 0000000054D8: E0502100 80022401
	s_mov_b64 exec, s[86:87]                                   // 0000000054E0: BEFE0156
	v_mov_b32_e32 v37, 0                                       // 0000000054E4: 7E4A0280
	s_mov_b64 exec, s[88:89]                                   // 0000000054E8: BEFE0158
	buffer_load_dword v37, v2, s[8:11], 0 idxen offset:256     // 0000000054EC: E0502100 80022502
	s_mov_b64 exec, s[86:87]                                   // 0000000054F4: BEFE0156
	buffer_load_dword v44, v212, s[20:23], 0 idxen             // 0000000054F8: E0502000 80052CD4
	buffer_load_dword v45, v213, s[20:23], 0 idxen             // 000000005500: E0502000 80052DD5
	buffer_load_dword v46, v212, s[20:23], 0 idxen offset:128  // 000000005508: E0502080 80052ED4
	buffer_load_dword v47, v213, s[20:23], 0 idxen offset:128  // 000000005510: E0502080 80052FD5
	v_mov_b32_e32 v48, 0                                       // 000000005518: 7E600280
	s_mov_b64 exec, s[88:89]                                   // 00000000551C: BEFE0158
	buffer_load_dword v48, v212, s[20:23], 0 idxen offset:256  // 000000005520: E0502100 800530D4
	s_mov_b64 exec, s[86:87]                                   // 000000005528: BEFE0156
	v_mov_b32_e32 v49, 0                                       // 00000000552C: 7E620280
	s_mov_b64 exec, s[88:89]                                   // 000000005530: BEFE0158
	buffer_load_dword v49, v213, s[20:23], 0 idxen offset:256  // 000000005534: E0502100 800531D5
	s_mov_b64 exec, s[86:87]                                   // 00000000553C: BEFE0156
	buffer_load_dword v9, s[24:27], 0 idxen lds                // 000000005540: E0512000 80060009
	s_mov_b32 m0, s77                                          // 000000005548: BEFC004D
	v_add_u32_e32 v9, s69, v9                                  // 00000000554C: 68121245
	v_add_u32_e32 v1, s68, v1                                  // 000000005550: 68020244
	v_add_u32_e32 v2, s68, v2                                  // 000000005554: 68040444
	v_add_u32_e32 v212, s97, v212                              // 000000005558: 69A9A861
	v_add_u32_e32 v213, s97, v213                              // 00000000555C: 69ABAA61
	v_mul_f32_e32 v128, s48, v128                              // 000000005560: 0B010030
	v_perm_b32 v68, v39, v38, s63                              // 000000005564: D1ED0044 00FE4D27
	v_perm_b32 v69, v39, v38, s64                              // 00000000556C: D1ED0045 01024D27
	v_perm_b32 v70, v41, v40, s63                              // 000000005574: D1ED0046 00FE5129
	v_perm_b32 v71, v41, v40, s64                              // 00000000557C: D1ED0047 01025129
	v_perm_b32 v72, v43, v42, s63                              // 000000005584: D1ED0048 00FE552B
	v_perm_b32 v73, v43, v42, s64                              // 00000000558C: D1ED0049 0102552B
	v_perm_b32 v74, v51, v50, s63                              // 000000005594: D1ED004A 00FE6533
	v_perm_b32 v75, v51, v50, s64                              // 00000000559C: D1ED004B 01026533
	v_perm_b32 v76, v53, v52, s63                              // 0000000055A4: D1ED004C 00FE6935
	v_perm_b32 v77, v53, v52, s64                              // 0000000055AC: D1ED004D 01026935
	v_perm_b32 v78, v55, v54, s63                              // 0000000055B4: D1ED004E 00FE6D37
	v_perm_b32 v79, v55, v54, s64                              // 0000000055BC: D1ED004F 01026D37
	v_mov_b32_dpp v131, v128 quad_perm:[3,3,3,3] row_mask:0xf bank_mask:0xf// 0000000055C4: 7F0602FA FF00FF80
	v_mov_b32_dpp v130, v128 quad_perm:[2,2,2,2] row_mask:0xf bank_mask:0xf// 0000000055CC: 7F0402FA FF00AA80
	v_mov_b32_dpp v129, v128 quad_perm:[1,1,1,1] row_mask:0xf bank_mask:0xf// 0000000055D4: 7F0202FA FF005580
	v_mov_b32_dpp v128, v128 quad_perm:[0,0,0,0] row_mask:0xf bank_mask:0xf// 0000000055DC: 7F0002FA FF000080
	s_waitcnt vmcnt(13)                                        // 0000000055E4: BF8C0F7D
	s_barrier                                                  // 0000000055E8: BF8A0000
	s_cmp_lt_i32 s46, 2                                        // 0000000055EC: BF04822E
	s_cbranch_scc0 label_098F                                  // 0000000055F0: BF840392
	s_nop 0                                                    // 0000000055F4: BF800000
	s_nop 0                                                    // 0000000055F8: BF800000

00000000000055fc <label_05FF>:
	s_waitcnt lgkmcnt(0)                                       // 0000000055FC: BF8CC07F
	s_barrier                                                  // 000000005600: BF8A0000
	v_mfma_f32_16x16x16_bf16 v[56:59], a[72:73], a[0:1], 0     // 000000005604: D3E10038 1A020148
	ds_write_b32 v11, v50 offset:13056                         // 00000000560C: D81A3300 0000320B
	ds_write_b32 v11, v51 offset:14112                         // 000000005614: D81A3720 0000330B
	ds_write_b32 v11, v52 offset:15232                         // 00000000561C: D81A3B80 0000340B
	v_mfma_f32_16x16x16_bf16 v[56:59], a[74:75], a[2:3], v[56:59]// 000000005624: D3E10038 1CE2054A
	v_mul_f32_e32 v132, s47, v132                              // 00000000562C: 0B09082F
	v_mul_f32_e32 v133, s47, v133                              // 000000005630: 0B0B0A2F
	v_mul_f32_e32 v134, s47, v134                              // 000000005634: 0B0D0C2F
	v_mul_f32_e32 v135, s47, v135                              // 000000005638: 0B0F0E2F
	v_mfma_f32_16x16x16_bf16 v[56:59], a[76:77], a[4:5], v[56:59]// 00000000563C: D3E10038 1CE2094C
	ds_write_b32 v11, v53 offset:16288                         // 000000005644: D81A3FA0 0000350B
	ds_write_b32 v11, v54 offset:17408                         // 00000000564C: D81A4400 0000360B
	ds_write_b32 v11, v55 offset:18464                         // 000000005654: D81A4820 0000370B
	v_mfma_f32_16x16x16_bf16 v[56:59], a[78:79], a[6:7], v[56:59]// 00000000565C: D3E10038 1CE20D4E
	v_mul_f32_e32 v136, s47, v136                              // 000000005664: 0B11102F
	v_mul_f32_e32 v137, s47, v137                              // 000000005668: 0B13122F
	v_mul_f32_e32 v138, s47, v138                              // 00000000566C: 0B15142F
	v_mul_f32_e32 v139, s47, v139                              // 000000005670: 0B17162F
	v_mfma_f32_16x16x16_bf16 v[56:59], a[80:81], a[8:9], v[56:59]// 000000005674: D3E10038 1CE21150
	ds_write_b64 v20, v[132:133] offset:28416                  // 00000000567C: D89A6F00 00008414
	ds_write_b64 v20, v[134:135] offset:28928                  // 000000005684: D89A7100 00008614
	v_mfma_f32_16x16x16_bf16 v[56:59], a[82:83], a[10:11], v[56:59]// 00000000568C: D3E10038 1CE21552
	v_mul_f32_e32 v140, s47, v140                              // 000000005694: 0B19182F
	v_mul_f32_e32 v141, s47, v141                              // 000000005698: 0B1B1A2F
	v_mul_f32_e32 v142, s47, v142                              // 00000000569C: 0B1D1C2F
	v_mul_f32_e32 v143, s47, v143                              // 0000000056A0: 0B1F1E2F
	v_mfma_f32_16x16x16_bf16 v[56:59], a[84:85], a[12:13], v[56:59]// 0000000056A4: D3E10038 1CE21954
	ds_write_b64 v20, v[136:137] offset:29440                  // 0000000056AC: D89A7300 00008814
	ds_write_b64 v20, v[138:139] offset:29952                  // 0000000056B4: D89A7500 00008A14
	v_mfma_f32_16x16x16_bf16 v[56:59], a[86:87], a[14:15], v[56:59]// 0000000056BC: D3E10038 1CE21D56
	ds_write_b64 v20, v[140:141] offset:30464                  // 0000000056C4: D89A7700 00008C14
	ds_write_b64 v20, v[142:143] offset:30976                  // 0000000056CC: D89A7900 00008E14
	v_mfma_f32_16x16x16_bf16 v[56:59], a[88:89], a[16:17], v[56:59]// 0000000056D4: D3E10038 1CE22158
	ds_read_b128 v[104:107], v12 offset:19584                  // 0000000056DC: D9FE4C80 6800000C
	v_mfma_f32_16x16x16_bf16 v[56:59], a[90:91], a[18:19], v[56:59]// 0000000056E4: D3E10038 1CE2255A
	ds_read_b128 v[108:111], v12 offset:20096                  // 0000000056EC: D9FE4E80 6C00000C
	v_mfma_f32_16x16x16_bf16 v[56:59], a[92:93], a[20:21], v[56:59]// 0000000056F4: D3E10038 1CE2295C
	ds_read_b128 v[112:115], v12 offset:21760                  // 0000000056FC: D9FE5500 7000000C
	ds_read_b128 v[116:119], v12 offset:22272                  // 000000005704: D9FE5700 7400000C
	v_mfma_f32_16x16x16_bf16 v[56:59], a[94:95], a[22:23], v[56:59]// 00000000570C: D3E10038 1CE22D5E
	ds_read_b128 v[120:123], v12 offset:23936                  // 000000005714: D9FE5D80 7800000C
	ds_read_b128 v[124:127], v12 offset:24448                  // 00000000571C: D9FE5F80 7C00000C
	s_cmp_lt_i32 s99, 64                                       // 000000005724: BF04C063
	s_cbranch_scc0 label_065A                                  // 000000005728: BF84000F
	v_and_b32_e32 v28, 15, v0                                  // 00000000572C: 2638008F
	v_mul_i32_i24_e64 v29, s46, 16                             // 000000005730: D106001D 0001202E
	v_add_u32_e32 v28, v28, v29                                // 000000005738: 68383B1C
	v_cmp_lt_u32_e64 s[60:61], v28, s99                        // 00000000573C: D0C9003C 0000C71C
	s_nop 1                                                    // 000000005744: BF800001
	v_cndmask_b32_e64 v56, v159, v56, s[60:61]                 // 000000005748: D1000038 00F2719F
	v_cndmask_b32_e64 v57, v159, v57, s[60:61]                 // 000000005750: D1000039 00F2739F
	v_cndmask_b32_e64 v58, v159, v58, s[60:61]                 // 000000005758: D100003A 00F2759F
	v_cndmask_b32_e64 v59, v159, v59, s[60:61]                 // 000000005760: D100003B 00F2779F

0000000000005768 <label_065A>:
	s_waitcnt lgkmcnt(6)                                       // 000000005768: BF8CC67F
	s_barrier                                                  // 00000000576C: BF8A0000
	v_mfma_f32_16x16x16_bf16 v[64:67], v[80:81], a[48:49], 0   // 000000005770: D3E10040 12026150
	ds_read_b128 a[72:75], v12 offset:6528                     // 000000005778: DBFE1980 4800000C
	ds_read_b128 a[76:79], v12 offset:7040                     // 000000005780: DBFE1B80 4C00000C
	ds_write_b32 v11, v38                                      // 000000005788: D81A0000 0000260B
	ds_write_b32 v11, v39 offset:1056                          // 000000005790: D81A0420 0000270B
	v_mfma_f32_16x16x16_bf16 v[64:67], v[82:83], a[50:51], v[64:67]// 000000005798: D3E10040 15026552
	v_fma_f32 v56, v56, s57, -v128                             // 0000000057A0: D1CB0038 86007338
	v_fma_f32 v57, v57, s57, -v129                             // 0000000057A8: D1CB0039 86047339
	v_fma_f32 v58, v58, s57, -v130                             // 0000000057B0: D1CB003A 8608733A
	v_fma_f32 v59, v59, s57, -v131                             // 0000000057B8: D1CB003B 860C733B
	v_mfma_f32_16x16x16_bf16 v[64:67], v[84:85], a[52:53], v[64:67]// 0000000057C0: D3E10040 15026954
	ds_read_b128 a[80:83], v12 offset:8704                     // 0000000057C8: DBFE2200 5000000C
	ds_read_b128 a[84:87], v12 offset:9216                     // 0000000057D0: DBFE2400 5400000C
	ds_write_b32 v11, v40 offset:2176                          // 0000000057D8: D81A0880 0000280B
	v_mfma_f32_16x16x16_bf16 v[64:67], v[86:87], a[54:55], v[64:67]// 0000000057E0: D3E10040 15026D56
	v_exp_f32_e32 v56, v56                                     // 0000000057E8: 7E704138
	v_mfma_f32_16x16x16_bf16 v[64:67], v[88:89], a[56:57], v[64:67]// 0000000057EC: D3E10040 15027158
	ds_read_b128 a[88:91], v12 offset:10880                    // 0000000057F4: DBFE2A80 5800000C
	ds_read_b128 a[92:95], v12 offset:11392                    // 0000000057FC: DBFE2C80 5C00000C
	ds_write_b32 v11, v41 offset:3232                          // 000000005804: D81A0CA0 0000290B
	v_mfma_f32_16x16x16_bf16 v[64:67], v[90:91], a[58:59], v[64:67]// 00000000580C: D3E10040 1502755A
	v_exp_f32_e32 v57, v57                                     // 000000005814: 7E724139
	v_mfma_f32_16x16x16_bf16 v[64:67], v[92:93], a[60:61], v[64:67]// 000000005818: D3E10040 1502795C
	ds_read_b64 v[144:145], v19 offset:28416                   // 000000005820: D8EC6F00 90000013
	ds_read_b64 v[146:147], v19 offset:30464                   // 000000005828: D8EC7700 92000013
	ds_read_b64 v[148:149], v19 offset:32512                   // 000000005830: D8EC7F00 94000013
	ds_write_b32 v11, v42 offset:4352                          // 000000005838: D81A1100 00002A0B
	v_mfma_f32_16x16x16_bf16 v[64:67], v[94:95], a[62:63], v[64:67]// 000000005840: D3E10040 15027D5E
	v_exp_f32_e32 v58, v58                                     // 000000005848: 7E74413A
	v_mfma_f32_16x16x16_bf16 v[64:67], v[96:97], a[64:65], v[64:67]// 00000000584C: D3E10040 15028160
	ds_read_b64 v[150:151], v19 offset:34560                   // 000000005854: D8EC8700 96000013
	ds_read_b64 v[152:153], v19 offset:36608                   // 00000000585C: D8EC8F00 98000013
	ds_read_b64 v[154:155], v19 offset:38656                   // 000000005864: D8EC9700 9A000013
	ds_write_b32 v11, v43 offset:5408                          // 00000000586C: D81A1520 00002B0B
	v_mfma_f32_16x16x16_bf16 v[64:67], v[98:99], a[66:67], v[64:67]// 000000005874: D3E10040 15028562
	v_exp_f32_e32 v59, v59                                     // 00000000587C: 7E76413B
	v_mfma_f32_16x16x16_bf16 v[64:67], v[100:101], a[68:69], v[64:67]// 000000005880: D3E10040 15028964
	v_perm_b32 v156, v57, v56, s64                             // 000000005888: D1ED009C 01027139
	v_mfma_f32_16x16x16_bf16 v[64:67], v[102:103], a[70:71], v[64:67]// 000000005890: D3E10040 15028D66
	v_perm_b32 v157, v59, v58, s64                             // 000000005898: D1ED009D 0102753B
	v_add_u32_e32 v7, s66, v7                                  // 0000000058A0: 680E0E42
	v_add_u32_e32 v8, s66, v8                                  // 0000000058A4: 68101042
	s_waitcnt lgkmcnt(0)                                       // 0000000058A8: BF8CC07F
	s_barrier                                                  // 0000000058AC: BF8A0000
	v_mfma_f32_16x16x16_bf16 v[160:163], v[104:105], v[156:157], v[160:163]// 0000000058B0: D3E100A0 06833968
	v_subrev_f32_dpp v64, v158, v64 quad_perm:[0,0,0,0] row_mask:0xf bank_mask:0xf// 0000000058B8: 068080FA FF00009E
	v_subrev_f32_dpp v65, v158, v65 quad_perm:[1,1,1,1] row_mask:0xf bank_mask:0xf// 0000000058C0: 068282FA FF00559E
	buffer_atomic_add_f32 v144, v7, s[32:35], 0 offen          // 0000000058C8: E1341000 80089007
	v_mfma_f32_16x16x16_bf16 v[164:167], v[106:107], v[156:157], v[164:167]// 0000000058D0: D3E100A4 0693396A
	v_subrev_f32_dpp v66, v158, v66 quad_perm:[2,2,2,2] row_mask:0xf bank_mask:0xf// 0000000058D8: 068484FA FF00AA9E
	v_subrev_f32_dpp v67, v158, v67 quad_perm:[3,3,3,3] row_mask:0xf bank_mask:0xf// 0000000058E0: 068686FA FF00FF9E
	buffer_atomic_add_f32 v145, v8, s[32:35], 0 offen          // 0000000058E8: E1341000 80089108
	v_mfma_f32_16x16x16_bf16 v[168:171], v[108:109], v[156:157], v[168:171]// 0000000058F0: D3E100A8 06A3396C
	v_mul_f32_e32 v64, v56, v64                                // 0000000058F8: 0A808138
	v_mul_f32_e32 v65, v57, v65                                // 0000000058FC: 0A828339
	buffer_atomic_add_f32 v146, v7, s[32:35], 0 offen offset:128// 000000005900: E1341080 80089207
	v_mfma_f32_16x16x16_bf16 v[172:175], v[110:111], v[156:157], v[172:175]// 000000005908: D3E100AC 06B3396E
	v_mul_f32_e32 v66, v58, v66                                // 000000005910: 0A84853A
	v_mul_f32_e32 v67, v59, v67                                // 000000005914: 0A86873B
	buffer_atomic_add_f32 v147, v8, s[32:35], 0 offen offset:128// 000000005918: E1341080 80089308
	v_mfma_f32_16x16x16_bf16 v[176:179], v[112:113], v[156:157], v[176:179]// 000000005920: D3E100B0 06C33970
	v_perm_b32 v64, v65, v64, s64                              // 000000005928: D1ED0040 01028141
	v_mfma_f32_16x16x16_bf16 v[180:183], v[114:115], v[156:157], v[180:183]// 000000005930: D3E100B4 06D33972
	v_perm_b32 v65, v67, v66, s64                              // 000000005938: D1ED0041 01028543
	v_mfma_f32_16x16x16_bf16 v[184:187], v[116:117], v[156:157], v[184:187]// 000000005940: D3E100B8 06E33974
	v_mov_b32_dpp v16, v64 quad_perm:[1,0,3,2] row_mask:0xf bank_mask:0xf// 000000005948: 7E2002FA FF00B140
	v_perm_b32 v56, v16, v64, v15                              // 000000005950: D1ED0038 043E8110
	buffer_atomic_add_f32 v148, v7, s[32:35], 0 offen offset:256// 000000005958: E1341100 80089407
	v_mfma_f32_16x16x16_bf16 v[188:191], v[118:119], v[156:157], v[188:191]// 000000005960: D3E100BC 06F33976
	v_mov_b32_dpp v16, v65 quad_perm:[1,0,3,2] row_mask:0xf bank_mask:0xf// 000000005968: 7E2002FA FF00B141
	v_perm_b32 v57, v16, v65, v15                              // 000000005970: D1ED0039 043E8310
	buffer_atomic_add_f32 v149, v8, s[32:35], 0 offen offset:256// 000000005978: E1341100 80089508
	v_mfma_f32_16x16x16_bf16 v[192:195], v[120:121], v[156:157], v[192:195]// 000000005980: D3E100C0 07033978
	ds_write_b32 v13, v68 offset:6528                          // 000000005988: D81A1980 0000440D
	ds_write_b32 v13, v69 offset:7584                          // 000000005990: D81A1DA0 0000450D
	v_mfma_f32_16x16x16_bf16 v[196:199], v[122:123], v[156:157], v[196:199]// 000000005998: D3E100C4 0713397A
	ds_write_b32 v18, v56 offset:26112                         // 0000000059A0: D81A6600 00003812
	ds_write_b32 v18, v57 offset:26656                         // 0000000059A8: D81A6820 00003912
	v_mfma_f32_16x16x16_bf16 v[200:203], v[124:125], v[156:157], v[200:203]// 0000000059B0: D3E100C8 0723397C
	ds_write_b32 v13, v70 offset:8704                          // 0000000059B8: D81A2200 0000460D
	ds_write_b32 v13, v71 offset:9760                          // 0000000059C0: D81A2620 0000470D
	v_mfma_f32_16x16x16_bf16 v[204:207], v[126:127], v[156:157], v[204:207]// 0000000059C8: D3E100CC 0733397E
	ds_write_b32 v13, v72 offset:10880                         // 0000000059D0: D81A2A80 0000480D
	ds_write_b32 v13, v73 offset:11936                         // 0000000059D8: D81A2EA0 0000490D
	s_barrier                                                  // 0000000059E0: BF8A0000
	v_mfma_f32_16x16x16_bf16 a[96:99], a[72:73], v[64:65], a[96:99]// 0000000059E4: D3E18060 0D828148
	buffer_atomic_add_f32 v150, v7, s[32:35], 0 offen offset:384// 0000000059EC: E1341180 80089607
	buffer_atomic_add_f32 v151, v8, s[32:35], 0 offen offset:384// 0000000059F4: E1341180 80089708
	v_mfma_f32_16x16x16_bf16 a[100:103], a[74:75], v[64:65], a[100:103]// 0000000059FC: D3E18064 0D92814A
	ds_read_b32 v128, v21 offset:41216                         // 000000005A04: D86CA100 80000015
	ds_read_b32 v158, v21 offset:41472                         // 000000005A0C: D86CA200 9E000015
	v_mfma_f32_16x16x16_bf16 a[104:107], a[76:77], v[64:65], a[104:107]// 000000005A14: D3E18068 0DA2814C
	s_waitcnt lgkmcnt(6)                                       // 000000005A1C: BF8CC67F
	s_barrier                                                  // 000000005A20: BF8A0000
	v_mfma_f32_16x16x16_bf16 a[108:111], a[78:79], v[64:65], a[108:111]// 000000005A24: D3E1806C 0DB2814E
	ds_read_b128 v[56:59], v17 offset:26112                    // 000000005A2C: D9FE6600 38000011
	v_mfma_f32_16x16x16_bf16 a[112:115], a[80:81], v[64:65], a[112:115]// 000000005A34: D3E18070 0DC28150
	s_mov_b64 exec, s[92:93]                                   // 000000005A3C: BEFE015C
	buffer_atomic_add_f32 v152, v7, s[32:35], 0 offen offset:512// 000000005A40: E1341200 80089807
	s_mov_b64 exec, s[86:87]                                   // 000000005A48: BEFE0156
	v_mfma_f32_16x16x16_bf16 a[116:119], a[82:83], v[64:65], a[116:119]// 000000005A4C: D3E18074 0DD28152
	ds_read_b128 v[60:63], v17 offset:27264                    // 000000005A54: D9FE6A80 3C000011
	v_mfma_f32_16x16x16_bf16 a[120:123], a[84:85], v[64:65], a[120:123]// 000000005A5C: D3E18078 0DE28154
	s_mov_b64 exec, s[92:93]                                   // 000000005A64: BEFE015C
	buffer_atomic_add_f32 v153, v8, s[32:35], 0 offen offset:512// 000000005A68: E1341200 80089908
	s_mov_b64 exec, s[86:87]                                   // 000000005A70: BEFE0156
	v_mfma_f32_16x16x16_bf16 a[124:127], a[86:87], v[64:65], a[124:127]// 000000005A74: D3E1807C 0DF28156
	ds_write_b32 v13, v74 offset:19584                         // 000000005A7C: D81A4C80 00004A0D
	ds_write_b32 v13, v75 offset:20640                         // 000000005A84: D81A50A0 00004B0D
	v_mfma_f32_16x16x16_bf16 a[128:131], a[88:89], v[64:65], a[128:131]// 000000005A8C: D3E18080 0E028158
	s_mov_b64 exec, s[94:95]                                   // 000000005A94: BEFE015E
	buffer_atomic_add_f32 v154, v7, s[32:35], 0 offen offset:640// 000000005A98: E1341280 80089A07
	s_mov_b64 exec, s[86:87]                                   // 000000005AA0: BEFE0156
	v_mfma_f32_16x16x16_bf16 a[132:135], a[90:91], v[64:65], a[132:135]// 000000005AA4: D3E18084 0E12815A
	ds_write_b32 v13, v76 offset:21760                         // 000000005AAC: D81A5500 00004C0D
	ds_write_b32 v13, v77 offset:22816                         // 000000005AB4: D81A5920 00004D0D
	v_mfma_f32_16x16x16_bf16 a[136:139], a[92:93], v[64:65], a[136:139]// 000000005ABC: D3E18088 0E22815C
	s_mov_b64 exec, s[94:95]                                   // 000000005AC4: BEFE015E
	buffer_atomic_add_f32 v155, v8, s[32:35], 0 offen offset:640// 000000005AC8: E1341280 80089B08
	s_mov_b64 exec, s[86:87]                                   // 000000005AD0: BEFE0156
	v_mfma_f32_16x16x16_bf16 a[140:143], a[94:95], v[64:65], a[140:143]// 000000005AD4: D3E1808C 0E32815E
	ds_write_b32 v13, v78 offset:23936                         // 000000005ADC: D81A5D80 00004E0D
	ds_write_b32 v13, v79 offset:24992                         // 000000005AE4: D81A61A0 00004F0D
	s_waitcnt vmcnt(12) lgkmcnt(6)                             // 000000005AEC: BF8C067C
	s_barrier                                                  // 000000005AF0: BF8A0000
	v_mfma_f32_16x16x16_bf16 v[132:135], v[56:57], a[24:25], 0 // 000000005AF4: D3E10084 12023138
	v_mul_f32_e32 v128, s48, v128                              // 000000005AFC: 0B010030
	v_perm_b32 v68, v33, v32, s63                              // 000000005B00: D1ED0044 00FE4121
	v_perm_b32 v69, v33, v32, s64                              // 000000005B08: D1ED0045 01024121
	v_perm_b32 v70, v35, v34, s63                              // 000000005B10: D1ED0046 00FE4523
	v_mfma_f32_16x16x16_bf16 v[132:135], v[58:59], a[30:31], v[132:135]// 000000005B18: D3E10084 16123D3A
	ds_read_b128 a[72:75], v10                                 // 000000005B20: DBFE0000 4800000A
	ds_read_b128 a[76:79], v10 offset:512                      // 000000005B28: DBFE0200 4C00000A
	ds_read_b128 a[80:83], v10 offset:2176                     // 000000005B30: DBFE0880 5000000A
	buffer_load_dword v38, v1, s[8:11], 0 idxen                // 000000005B38: E0502000 80022601
	buffer_load_dword v39, v2, s[8:11], 0 idxen                // 000000005B40: E0502000 80022702
	v_mfma_f32_16x16x16_bf16 v[132:135], v[60:61], a[36:37], v[132:135]// 000000005B48: D3E10084 1612493C
	v_perm_b32 v71, v35, v34, s64                              // 000000005B50: D1ED0047 01024523
	v_perm_b32 v72, v37, v36, s63                              // 000000005B58: D1ED0048 00FE4925
	v_perm_b32 v73, v37, v36, s64                              // 000000005B60: D1ED0049 01024925
	v_mfma_f32_16x16x16_bf16 v[132:135], v[62:63], a[42:43], v[132:135]// 000000005B68: D3E10084 1612553E
	ds_read_b128 a[84:87], v10 offset:2688                     // 000000005B70: DBFE0A80 5400000A
	ds_read_b128 a[88:91], v10 offset:4352                     // 000000005B78: DBFE1100 5800000A
	ds_read_b128 a[92:95], v10 offset:4864                     // 000000005B80: DBFE1300 5C00000A
	buffer_load_dword v40, v1, s[8:11], 0 idxen offset:128     // 000000005B88: E0502080 80022801
	buffer_load_dword v41, v2, s[8:11], 0 idxen offset:128     // 000000005B90: E0502080 80022902
	v_mfma_f32_16x16x16_bf16 v[136:139], v[56:57], a[26:27], 0 // 000000005B98: D3E10088 12023538
	v_perm_b32 v74, v45, v44, s63                              // 000000005BA0: D1ED004A 00FE592D
	v_perm_b32 v75, v45, v44, s64                              // 000000005BA8: D1ED004B 0102592D
	v_perm_b32 v76, v47, v46, s63                              // 000000005BB0: D1ED004C 00FE5D2F
	v_mov_b32_dpp v131, v128 quad_perm:[3,3,3,3] row_mask:0xf bank_mask:0xf// 000000005BB8: 7F0602FA FF00FF80
	v_mov_b32_dpp v130, v128 quad_perm:[2,2,2,2] row_mask:0xf bank_mask:0xf// 000000005BC0: 7F0402FA FF00AA80
	v_mfma_f32_16x16x16_bf16 v[136:139], v[58:59], a[32:33], v[136:139]// 000000005BC8: D3E10088 1622413A
	ds_read_b128 v[80:83], v10 offset:13056                    // 000000005BD0: D9FE3300 5000000A
	ds_read_b128 v[84:87], v10 offset:13568                    // 000000005BD8: D9FE3500 5400000A
	ds_read_b128 v[88:91], v10 offset:15232                    // 000000005BE0: D9FE3B80 5800000A
	buffer_load_dword v50, v212, s[20:23], 0 idxen             // 000000005BE8: E0502000 800532D4
	buffer_load_dword v51, v213, s[20:23], 0 idxen             // 000000005BF0: E0502000 800533D5
	v_mfma_f32_16x16x16_bf16 v[136:139], v[60:61], a[38:39], v[136:139]// 000000005BF8: D3E10088 16224D3C
	v_perm_b32 v77, v47, v46, s64                              // 000000005C00: D1ED004D 01025D2F
	v_perm_b32 v78, v49, v48, s63                              // 000000005C08: D1ED004E 00FE6131
	v_perm_b32 v79, v49, v48, s64                              // 000000005C10: D1ED004F 01026131
	v_mov_b32_dpp v129, v128 quad_perm:[1,1,1,1] row_mask:0xf bank_mask:0xf// 000000005C18: 7F0202FA FF005580
	v_mov_b32_dpp v128, v128 quad_perm:[0,0,0,0] row_mask:0xf bank_mask:0xf// 000000005C20: 7F0002FA FF000080
	v_mfma_f32_16x16x16_bf16 v[136:139], v[62:63], a[44:45], v[136:139]// 000000005C28: D3E10088 1622593E
	ds_read_b128 v[92:95], v10 offset:15744                    // 000000005C30: D9FE3D80 5C00000A
	ds_read_b128 v[96:99], v10 offset:17408                    // 000000005C38: D9FE4400 6000000A
	ds_read_b128 v[100:103], v10 offset:17920                  // 000000005C40: D9FE4600 6400000A
	buffer_load_dword v52, v212, s[20:23], 0 idxen offset:128  // 000000005C48: E0502080 800534D4
	buffer_load_dword v53, v213, s[20:23], 0 idxen offset:128  // 000000005C50: E0502080 800535D5
	v_mfma_f32_16x16x16_bf16 v[140:143], v[56:57], a[28:29], 0 // 000000005C58: D3E1008C 12023938
	s_add_u32 s60, 64, s59                                     // 000000005C60: 803C3BC0
	s_cmp_lt_u32 s60, s58                                      // 000000005C64: BF0A3A3C
	s_cselect_b32 s68, s68, 0                                  // 000000005C68: 85448044
	s_cselect_b32 s97, s97, 0                                  // 000000005C6C: 85618061
	s_cselect_b32 s69, s69, 0                                  // 000000005C70: 85458045
	v_mfma_f32_16x16x16_bf16 v[140:143], v[58:59], a[34:35], v[140:143]// 000000005C74: D3E1008C 1632453A
	buffer_load_dword v9, s[24:27], 0 idxen lds                // 000000005C7C: E0512000 80060009
	v_mov_b32_e32 v42, 0                                       // 000000005C84: 7E540280
	s_mov_b64 exec, s[88:89]                                   // 000000005C88: BEFE0158
	buffer_load_dword v42, v1, s[8:11], 0 idxen offset:256     // 000000005C8C: E0502100 80022A01
	s_mov_b64 exec, s[86:87]                                   // 000000005C94: BEFE0156
	v_mov_b32_e32 v43, 0                                       // 000000005C98: 7E560280
	s_mov_b64 exec, s[88:89]                                   // 000000005C9C: BEFE0158
	buffer_load_dword v43, v2, s[8:11], 0 idxen offset:256     // 000000005CA0: E0502100 80022B02
	s_mov_b64 exec, s[86:87]                                   // 000000005CA8: BEFE0156
	v_mfma_f32_16x16x16_bf16 v[140:143], v[60:61], a[40:41], v[140:143]// 000000005CAC: D3E1008C 1632513C
	v_mov_b32_e32 v54, 0                                       // 000000005CB4: 7E6C0280
	s_mov_b64 exec, s[88:89]                                   // 000000005CB8: BEFE0158
	buffer_load_dword v54, v212, s[20:23], 0 idxen offset:256  // 000000005CBC: E0502100 800536D4
	s_mov_b64 exec, s[86:87]                                   // 000000005CC4: BEFE0156
	v_mov_b32_e32 v55, 0                                       // 000000005CC8: 7E6E0280
	s_mov_b64 exec, s[88:89]                                   // 000000005CCC: BEFE0158
	buffer_load_dword v55, v213, s[20:23], 0 idxen offset:256  // 000000005CD0: E0502100 800537D5
	s_mov_b64 exec, s[86:87]                                   // 000000005CD8: BEFE0156
	v_add_u32_e32 v1, s68, v1                                  // 000000005CDC: 68020244
	v_add_u32_e32 v2, s68, v2                                  // 000000005CE0: 68040444
	v_add_u32_e32 v212, s97, v212                              // 000000005CE4: 69A9A861
	v_add_u32_e32 v213, s97, v213                              // 000000005CE8: 69ABAA61
	s_mov_b32 m0, s76                                          // 000000005CEC: BEFC004C
	v_add_u32_e32 v9, s69, v9                                  // 000000005CF0: 68121245
	v_mfma_f32_16x16x16_bf16 v[140:143], v[62:63], a[46:47], v[140:143]// 000000005CF4: D3E1008C 16325D3E
	s_cmp_ge_u32 s59, 16                                       // 000000005CFC: BF09903B
	s_cselect_b32 s66, s67, s66                                // 000000005D00: 85424243
	s_addk_i32 s59, 0x10                                       // 000000005D04: B73B0010
	s_nop 0                                                    // 000000005D08: BF800000
	s_cmp_lt_i32 s59, s58                                      // 000000005D0C: BF043A3B
	s_cbranch_scc0 label_098C                                  // 000000005D10: BF8401C7
	s_waitcnt lgkmcnt(0)                                       // 000000005D14: BF8CC07F
	s_barrier                                                  // 000000005D18: BF8A0000
	v_mfma_f32_16x16x16_bf16 v[56:59], a[72:73], a[0:1], 0     // 000000005D1C: D3E10038 1A020148
	ds_write_b32 v11, v44 offset:13056                         // 000000005D24: D81A3300 00002C0B
	ds_write_b32 v11, v45 offset:14112                         // 000000005D2C: D81A3720 00002D0B
	ds_write_b32 v11, v46 offset:15232                         // 000000005D34: D81A3B80 00002E0B
	v_mfma_f32_16x16x16_bf16 v[56:59], a[74:75], a[2:3], v[56:59]// 000000005D3C: D3E10038 1CE2054A
	v_mul_f32_e32 v132, s47, v132                              // 000000005D44: 0B09082F
	v_mul_f32_e32 v133, s47, v133                              // 000000005D48: 0B0B0A2F
	v_mul_f32_e32 v134, s47, v134                              // 000000005D4C: 0B0D0C2F
	v_mul_f32_e32 v135, s47, v135                              // 000000005D50: 0B0F0E2F
	v_mfma_f32_16x16x16_bf16 v[56:59], a[76:77], a[4:5], v[56:59]// 000000005D54: D3E10038 1CE2094C
	ds_write_b32 v11, v47 offset:16288                         // 000000005D5C: D81A3FA0 00002F0B
	ds_write_b32 v11, v48 offset:17408                         // 000000005D64: D81A4400 0000300B
	ds_write_b32 v11, v49 offset:18464                         // 000000005D6C: D81A4820 0000310B
	v_mfma_f32_16x16x16_bf16 v[56:59], a[78:79], a[6:7], v[56:59]// 000000005D74: D3E10038 1CE20D4E
	v_mul_f32_e32 v136, s47, v136                              // 000000005D7C: 0B11102F
	v_mul_f32_e32 v137, s47, v137                              // 000000005D80: 0B13122F
	v_mul_f32_e32 v138, s47, v138                              // 000000005D84: 0B15142F
	v_mul_f32_e32 v139, s47, v139                              // 000000005D88: 0B17162F
	v_mfma_f32_16x16x16_bf16 v[56:59], a[80:81], a[8:9], v[56:59]// 000000005D8C: D3E10038 1CE21150
	ds_write_b64 v20, v[132:133] offset:28416                  // 000000005D94: D89A6F00 00008414
	ds_write_b64 v20, v[134:135] offset:28928                  // 000000005D9C: D89A7100 00008614
	v_mfma_f32_16x16x16_bf16 v[56:59], a[82:83], a[10:11], v[56:59]// 000000005DA4: D3E10038 1CE21552
	v_mul_f32_e32 v140, s47, v140                              // 000000005DAC: 0B19182F
	v_mul_f32_e32 v141, s47, v141                              // 000000005DB0: 0B1B1A2F
	v_mul_f32_e32 v142, s47, v142                              // 000000005DB4: 0B1D1C2F
	v_mul_f32_e32 v143, s47, v143                              // 000000005DB8: 0B1F1E2F
	v_mfma_f32_16x16x16_bf16 v[56:59], a[84:85], a[12:13], v[56:59]// 000000005DBC: D3E10038 1CE21954
	ds_write_b64 v20, v[136:137] offset:29440                  // 000000005DC4: D89A7300 00008814
	ds_write_b64 v20, v[138:139] offset:29952                  // 000000005DCC: D89A7500 00008A14
	v_mfma_f32_16x16x16_bf16 v[56:59], a[86:87], a[14:15], v[56:59]// 000000005DD4: D3E10038 1CE21D56
	ds_write_b64 v20, v[140:141] offset:30464                  // 000000005DDC: D89A7700 00008C14
	ds_write_b64 v20, v[142:143] offset:30976                  // 000000005DE4: D89A7900 00008E14
	v_mfma_f32_16x16x16_bf16 v[56:59], a[88:89], a[16:17], v[56:59]// 000000005DEC: D3E10038 1CE22158
	ds_read_b128 v[104:107], v12 offset:19584                  // 000000005DF4: D9FE4C80 6800000C
	v_mfma_f32_16x16x16_bf16 v[56:59], a[90:91], a[18:19], v[56:59]// 000000005DFC: D3E10038 1CE2255A
	ds_read_b128 v[108:111], v12 offset:20096                  // 000000005E04: D9FE4E80 6C00000C
	v_mfma_f32_16x16x16_bf16 v[56:59], a[92:93], a[20:21], v[56:59]// 000000005E0C: D3E10038 1CE2295C
	ds_read_b128 v[112:115], v12 offset:21760                  // 000000005E14: D9FE5500 7000000C
	ds_read_b128 v[116:119], v12 offset:22272                  // 000000005E1C: D9FE5700 7400000C
	v_mfma_f32_16x16x16_bf16 v[56:59], a[94:95], a[22:23], v[56:59]// 000000005E24: D3E10038 1CE22D5E
	ds_read_b128 v[120:123], v12 offset:23936                  // 000000005E2C: D9FE5D80 7800000C
	ds_read_b128 v[124:127], v12 offset:24448                  // 000000005E34: D9FE5F80 7C00000C
	s_cmp_lt_i32 s99, 64                                       // 000000005E3C: BF04C063
	s_cbranch_scc0 label_0820                                  // 000000005E40: BF84000F
	v_and_b32_e32 v28, 15, v0                                  // 000000005E44: 2638008F
	v_mul_i32_i24_e64 v29, s46, 16                             // 000000005E48: D106001D 0001202E
	v_add_u32_e32 v28, v28, v29                                // 000000005E50: 68383B1C
	v_cmp_lt_u32_e64 s[60:61], v28, s99                        // 000000005E54: D0C9003C 0000C71C
	s_nop 1                                                    // 000000005E5C: BF800001
	v_cndmask_b32_e64 v56, v159, v56, s[60:61]                 // 000000005E60: D1000038 00F2719F
	v_cndmask_b32_e64 v57, v159, v57, s[60:61]                 // 000000005E68: D1000039 00F2739F
	v_cndmask_b32_e64 v58, v159, v58, s[60:61]                 // 000000005E70: D100003A 00F2759F
	v_cndmask_b32_e64 v59, v159, v59, s[60:61]                 // 000000005E78: D100003B 00F2779F

0000000000005e80 <label_0820>:
	s_waitcnt lgkmcnt(6)                                       // 000000005E80: BF8CC67F
	s_barrier                                                  // 000000005E84: BF8A0000
	v_mfma_f32_16x16x16_bf16 v[64:67], v[80:81], a[48:49], 0   // 000000005E88: D3E10040 12026150
	ds_read_b128 a[72:75], v12 offset:6528                     // 000000005E90: DBFE1980 4800000C
	ds_read_b128 a[76:79], v12 offset:7040                     // 000000005E98: DBFE1B80 4C00000C
	ds_write_b32 v11, v32                                      // 000000005EA0: D81A0000 0000200B
	ds_write_b32 v11, v33 offset:1056                          // 000000005EA8: D81A0420 0000210B
	v_mfma_f32_16x16x16_bf16 v[64:67], v[82:83], a[50:51], v[64:67]// 000000005EB0: D3E10040 15026552
	v_fma_f32 v56, v56, s57, -v128                             // 000000005EB8: D1CB0038 86007338
	v_fma_f32 v57, v57, s57, -v129                             // 000000005EC0: D1CB0039 86047339
	v_fma_f32 v58, v58, s57, -v130                             // 000000005EC8: D1CB003A 8608733A
	v_fma_f32 v59, v59, s57, -v131                             // 000000005ED0: D1CB003B 860C733B
	v_mfma_f32_16x16x16_bf16 v[64:67], v[84:85], a[52:53], v[64:67]// 000000005ED8: D3E10040 15026954
	ds_read_b128 a[80:83], v12 offset:8704                     // 000000005EE0: DBFE2200 5000000C
	ds_read_b128 a[84:87], v12 offset:9216                     // 000000005EE8: DBFE2400 5400000C
	ds_write_b32 v11, v34 offset:2176                          // 000000005EF0: D81A0880 0000220B
	v_mfma_f32_16x16x16_bf16 v[64:67], v[86:87], a[54:55], v[64:67]// 000000005EF8: D3E10040 15026D56
	v_exp_f32_e32 v56, v56                                     // 000000005F00: 7E704138
	v_mfma_f32_16x16x16_bf16 v[64:67], v[88:89], a[56:57], v[64:67]// 000000005F04: D3E10040 15027158
	ds_read_b128 a[88:91], v12 offset:10880                    // 000000005F0C: DBFE2A80 5800000C
	ds_read_b128 a[92:95], v12 offset:11392                    // 000000005F14: DBFE2C80 5C00000C
	ds_write_b32 v11, v35 offset:3232                          // 000000005F1C: D81A0CA0 0000230B
	v_mfma_f32_16x16x16_bf16 v[64:67], v[90:91], a[58:59], v[64:67]// 000000005F24: D3E10040 1502755A
	v_exp_f32_e32 v57, v57                                     // 000000005F2C: 7E724139
	v_mfma_f32_16x16x16_bf16 v[64:67], v[92:93], a[60:61], v[64:67]// 000000005F30: D3E10040 1502795C
	ds_read_b64 v[144:145], v19 offset:28416                   // 000000005F38: D8EC6F00 90000013
	ds_read_b64 v[146:147], v19 offset:30464                   // 000000005F40: D8EC7700 92000013
	ds_read_b64 v[148:149], v19 offset:32512                   // 000000005F48: D8EC7F00 94000013
	ds_write_b32 v11, v36 offset:4352                          // 000000005F50: D81A1100 0000240B
	v_mfma_f32_16x16x16_bf16 v[64:67], v[94:95], a[62:63], v[64:67]// 000000005F58: D3E10040 15027D5E
	v_exp_f32_e32 v58, v58                                     // 000000005F60: 7E74413A
	v_mfma_f32_16x16x16_bf16 v[64:67], v[96:97], a[64:65], v[64:67]// 000000005F64: D3E10040 15028160
	ds_read_b64 v[150:151], v19 offset:34560                   // 000000005F6C: D8EC8700 96000013
	ds_read_b64 v[152:153], v19 offset:36608                   // 000000005F74: D8EC8F00 98000013
	ds_read_b64 v[154:155], v19 offset:38656                   // 000000005F7C: D8EC9700 9A000013
	ds_write_b32 v11, v37 offset:5408                          // 000000005F84: D81A1520 0000250B
	v_mfma_f32_16x16x16_bf16 v[64:67], v[98:99], a[66:67], v[64:67]// 000000005F8C: D3E10040 15028562
	v_exp_f32_e32 v59, v59                                     // 000000005F94: 7E76413B
	v_mfma_f32_16x16x16_bf16 v[64:67], v[100:101], a[68:69], v[64:67]// 000000005F98: D3E10040 15028964
	v_perm_b32 v156, v57, v56, s64                             // 000000005FA0: D1ED009C 01027139
	v_mfma_f32_16x16x16_bf16 v[64:67], v[102:103], a[70:71], v[64:67]// 000000005FA8: D3E10040 15028D66
	v_perm_b32 v157, v59, v58, s64                             // 000000005FB0: D1ED009D 0102753B
	v_add_u32_e32 v7, s66, v7                                  // 000000005FB8: 680E0E42
	v_add_u32_e32 v8, s66, v8                                  // 000000005FBC: 68101042
	s_waitcnt lgkmcnt(0)                                       // 000000005FC0: BF8CC07F
	s_barrier                                                  // 000000005FC4: BF8A0000
	v_mfma_f32_16x16x16_bf16 v[160:163], v[104:105], v[156:157], v[160:163]// 000000005FC8: D3E100A0 06833968
	v_subrev_f32_dpp v64, v158, v64 quad_perm:[0,0,0,0] row_mask:0xf bank_mask:0xf// 000000005FD0: 068080FA FF00009E
	v_subrev_f32_dpp v65, v158, v65 quad_perm:[1,1,1,1] row_mask:0xf bank_mask:0xf// 000000005FD8: 068282FA FF00559E
	buffer_atomic_add_f32 v144, v7, s[32:35], 0 offen          // 000000005FE0: E1341000 80089007
	v_mfma_f32_16x16x16_bf16 v[164:167], v[106:107], v[156:157], v[164:167]// 000000005FE8: D3E100A4 0693396A
	v_subrev_f32_dpp v66, v158, v66 quad_perm:[2,2,2,2] row_mask:0xf bank_mask:0xf// 000000005FF0: 068484FA FF00AA9E
	v_subrev_f32_dpp v67, v158, v67 quad_perm:[3,3,3,3] row_mask:0xf bank_mask:0xf// 000000005FF8: 068686FA FF00FF9E
	buffer_atomic_add_f32 v145, v8, s[32:35], 0 offen          // 000000006000: E1341000 80089108
	v_mfma_f32_16x16x16_bf16 v[168:171], v[108:109], v[156:157], v[168:171]// 000000006008: D3E100A8 06A3396C
	v_mul_f32_e32 v64, v56, v64                                // 000000006010: 0A808138
	v_mul_f32_e32 v65, v57, v65                                // 000000006014: 0A828339
	buffer_atomic_add_f32 v146, v7, s[32:35], 0 offen offset:128// 000000006018: E1341080 80089207
	v_mfma_f32_16x16x16_bf16 v[172:175], v[110:111], v[156:157], v[172:175]// 000000006020: D3E100AC 06B3396E
	v_mul_f32_e32 v66, v58, v66                                // 000000006028: 0A84853A
	v_mul_f32_e32 v67, v59, v67                                // 00000000602C: 0A86873B
	buffer_atomic_add_f32 v147, v8, s[32:35], 0 offen offset:128// 000000006030: E1341080 80089308
	v_mfma_f32_16x16x16_bf16 v[176:179], v[112:113], v[156:157], v[176:179]// 000000006038: D3E100B0 06C33970
	v_perm_b32 v64, v65, v64, s64                              // 000000006040: D1ED0040 01028141
	v_mfma_f32_16x16x16_bf16 v[180:183], v[114:115], v[156:157], v[180:183]// 000000006048: D3E100B4 06D33972
	v_perm_b32 v65, v67, v66, s64                              // 000000006050: D1ED0041 01028543
	v_mfma_f32_16x16x16_bf16 v[184:187], v[116:117], v[156:157], v[184:187]// 000000006058: D3E100B8 06E33974
	v_mov_b32_dpp v16, v64 quad_perm:[1,0,3,2] row_mask:0xf bank_mask:0xf// 000000006060: 7E2002FA FF00B140
	v_perm_b32 v56, v16, v64, v15                              // 000000006068: D1ED0038 043E8110
	buffer_atomic_add_f32 v148, v7, s[32:35], 0 offen offset:256// 000000006070: E1341100 80089407
	v_mfma_f32_16x16x16_bf16 v[188:191], v[118:119], v[156:157], v[188:191]// 000000006078: D3E100BC 06F33976
	v_mov_b32_dpp v16, v65 quad_perm:[1,0,3,2] row_mask:0xf bank_mask:0xf// 000000006080: 7E2002FA FF00B141
	v_perm_b32 v57, v16, v65, v15                              // 000000006088: D1ED0039 043E8310
	buffer_atomic_add_f32 v149, v8, s[32:35], 0 offen offset:256// 000000006090: E1341100 80089508
	v_mfma_f32_16x16x16_bf16 v[192:195], v[120:121], v[156:157], v[192:195]// 000000006098: D3E100C0 07033978
	ds_write_b32 v13, v68 offset:6528                          // 0000000060A0: D81A1980 0000440D
	ds_write_b32 v13, v69 offset:7584                          // 0000000060A8: D81A1DA0 0000450D
	v_mfma_f32_16x16x16_bf16 v[196:199], v[122:123], v[156:157], v[196:199]// 0000000060B0: D3E100C4 0713397A
	ds_write_b32 v18, v56 offset:26112                         // 0000000060B8: D81A6600 00003812
	ds_write_b32 v18, v57 offset:26656                         // 0000000060C0: D81A6820 00003912
	v_mfma_f32_16x16x16_bf16 v[200:203], v[124:125], v[156:157], v[200:203]// 0000000060C8: D3E100C8 0723397C
	ds_write_b32 v13, v70 offset:8704                          // 0000000060D0: D81A2200 0000460D
	ds_write_b32 v13, v71 offset:9760                          // 0000000060D8: D81A2620 0000470D
	v_mfma_f32_16x16x16_bf16 v[204:207], v[126:127], v[156:157], v[204:207]// 0000000060E0: D3E100CC 0733397E
	ds_write_b32 v13, v72 offset:10880                         // 0000000060E8: D81A2A80 0000480D
	ds_write_b32 v13, v73 offset:11936                         // 0000000060F0: D81A2EA0 0000490D
	s_barrier                                                  // 0000000060F8: BF8A0000
	v_mfma_f32_16x16x16_bf16 a[96:99], a[72:73], v[64:65], a[96:99]// 0000000060FC: D3E18060 0D828148
	buffer_atomic_add_f32 v150, v7, s[32:35], 0 offen offset:384// 000000006104: E1341180 80089607
	buffer_atomic_add_f32 v151, v8, s[32:35], 0 offen offset:384// 00000000610C: E1341180 80089708
	v_mfma_f32_16x16x16_bf16 a[100:103], a[74:75], v[64:65], a[100:103]// 000000006114: D3E18064 0D92814A
	ds_read_b32 v128, v21 offset:40704                         // 00000000611C: D86C9F00 80000015
	ds_read_b32 v158, v21 offset:40960                         // 000000006124: D86CA000 9E000015
	v_mfma_f32_16x16x16_bf16 a[104:107], a[76:77], v[64:65], a[104:107]// 00000000612C: D3E18068 0DA2814C
	s_waitcnt lgkmcnt(6)                                       // 000000006134: BF8CC67F
	s_barrier                                                  // 000000006138: BF8A0000
	v_mfma_f32_16x16x16_bf16 a[108:111], a[78:79], v[64:65], a[108:111]// 00000000613C: D3E1806C 0DB2814E
	ds_read_b128 v[56:59], v17 offset:26112                    // 000000006144: D9FE6600 38000011
	v_mfma_f32_16x16x16_bf16 a[112:115], a[80:81], v[64:65], a[112:115]// 00000000614C: D3E18070 0DC28150
	s_mov_b64 exec, s[92:93]                                   // 000000006154: BEFE015C
	buffer_atomic_add_f32 v152, v7, s[32:35], 0 offen offset:512// 000000006158: E1341200 80089807
	s_mov_b64 exec, s[86:87]                                   // 000000006160: BEFE0156
	v_mfma_f32_16x16x16_bf16 a[116:119], a[82:83], v[64:65], a[116:119]// 000000006164: D3E18074 0DD28152
	ds_read_b128 v[60:63], v17 offset:27264                    // 00000000616C: D9FE6A80 3C000011
	v_mfma_f32_16x16x16_bf16 a[120:123], a[84:85], v[64:65], a[120:123]// 000000006174: D3E18078 0DE28154
	s_mov_b64 exec, s[92:93]                                   // 00000000617C: BEFE015C
	buffer_atomic_add_f32 v153, v8, s[32:35], 0 offen offset:512// 000000006180: E1341200 80089908
	s_mov_b64 exec, s[86:87]                                   // 000000006188: BEFE0156
	v_mfma_f32_16x16x16_bf16 a[124:127], a[86:87], v[64:65], a[124:127]// 00000000618C: D3E1807C 0DF28156
	ds_write_b32 v13, v74 offset:19584                         // 000000006194: D81A4C80 00004A0D
	ds_write_b32 v13, v75 offset:20640                         // 00000000619C: D81A50A0 00004B0D
	v_mfma_f32_16x16x16_bf16 a[128:131], a[88:89], v[64:65], a[128:131]// 0000000061A4: D3E18080 0E028158
	s_mov_b64 exec, s[94:95]                                   // 0000000061AC: BEFE015E
	buffer_atomic_add_f32 v154, v7, s[32:35], 0 offen offset:640// 0000000061B0: E1341280 80089A07
	s_mov_b64 exec, s[86:87]                                   // 0000000061B8: BEFE0156
	v_mfma_f32_16x16x16_bf16 a[132:135], a[90:91], v[64:65], a[132:135]// 0000000061BC: D3E18084 0E12815A
	ds_write_b32 v13, v76 offset:21760                         // 0000000061C4: D81A5500 00004C0D
	ds_write_b32 v13, v77 offset:22816                         // 0000000061CC: D81A5920 00004D0D
	v_mfma_f32_16x16x16_bf16 a[136:139], a[92:93], v[64:65], a[136:139]// 0000000061D4: D3E18088 0E22815C
	s_mov_b64 exec, s[94:95]                                   // 0000000061DC: BEFE015E
	buffer_atomic_add_f32 v155, v8, s[32:35], 0 offen offset:640// 0000000061E0: E1341280 80089B08
	s_mov_b64 exec, s[86:87]                                   // 0000000061E8: BEFE0156
	v_mfma_f32_16x16x16_bf16 a[140:143], a[94:95], v[64:65], a[140:143]// 0000000061EC: D3E1808C 0E32815E
	ds_write_b32 v13, v78 offset:23936                         // 0000000061F4: D81A5D80 00004E0D
	ds_write_b32 v13, v79 offset:24992                         // 0000000061FC: D81A61A0 00004F0D
	s_waitcnt vmcnt(12) lgkmcnt(6)                             // 000000006204: BF8C067C
	s_barrier                                                  // 000000006208: BF8A0000
	v_mfma_f32_16x16x16_bf16 v[132:135], v[56:57], a[24:25], 0 // 00000000620C: D3E10084 12023138
	v_mul_f32_e32 v128, s48, v128                              // 000000006214: 0B010030
	v_perm_b32 v68, v39, v38, s63                              // 000000006218: D1ED0044 00FE4D27
	v_perm_b32 v69, v39, v38, s64                              // 000000006220: D1ED0045 01024D27
	v_perm_b32 v70, v41, v40, s63                              // 000000006228: D1ED0046 00FE5129
	v_mfma_f32_16x16x16_bf16 v[132:135], v[58:59], a[30:31], v[132:135]// 000000006230: D3E10084 16123D3A
	ds_read_b128 a[72:75], v10                                 // 000000006238: DBFE0000 4800000A
	ds_read_b128 a[76:79], v10 offset:512                      // 000000006240: DBFE0200 4C00000A
	ds_read_b128 a[80:83], v10 offset:2176                     // 000000006248: DBFE0880 5000000A
	buffer_load_dword v32, v1, s[8:11], 0 idxen                // 000000006250: E0502000 80022001
	buffer_load_dword v33, v2, s[8:11], 0 idxen                // 000000006258: E0502000 80022102
	v_mfma_f32_16x16x16_bf16 v[132:135], v[60:61], a[36:37], v[132:135]// 000000006260: D3E10084 1612493C
	v_perm_b32 v71, v41, v40, s64                              // 000000006268: D1ED0047 01025129
	v_perm_b32 v72, v43, v42, s63                              // 000000006270: D1ED0048 00FE552B
	v_perm_b32 v73, v43, v42, s64                              // 000000006278: D1ED0049 0102552B
	v_mfma_f32_16x16x16_bf16 v[132:135], v[62:63], a[42:43], v[132:135]// 000000006280: D3E10084 1612553E
	ds_read_b128 a[84:87], v10 offset:2688                     // 000000006288: DBFE0A80 5400000A
	ds_read_b128 a[88:91], v10 offset:4352                     // 000000006290: DBFE1100 5800000A
	ds_read_b128 a[92:95], v10 offset:4864                     // 000000006298: DBFE1300 5C00000A
	buffer_load_dword v34, v1, s[8:11], 0 idxen offset:128     // 0000000062A0: E0502080 80022201
	buffer_load_dword v35, v2, s[8:11], 0 idxen offset:128     // 0000000062A8: E0502080 80022302
	v_mfma_f32_16x16x16_bf16 v[136:139], v[56:57], a[26:27], 0 // 0000000062B0: D3E10088 12023538
	v_perm_b32 v74, v51, v50, s63                              // 0000000062B8: D1ED004A 00FE6533
	v_perm_b32 v75, v51, v50, s64                              // 0000000062C0: D1ED004B 01026533
	v_perm_b32 v76, v53, v52, s63                              // 0000000062C8: D1ED004C 00FE6935
	v_mov_b32_dpp v131, v128 quad_perm:[3,3,3,3] row_mask:0xf bank_mask:0xf// 0000000062D0: 7F0602FA FF00FF80
	v_mov_b32_dpp v130, v128 quad_perm:[2,2,2,2] row_mask:0xf bank_mask:0xf// 0000000062D8: 7F0402FA FF00AA80
	v_mfma_f32_16x16x16_bf16 v[136:139], v[58:59], a[32:33], v[136:139]// 0000000062E0: D3E10088 1622413A
	ds_read_b128 v[80:83], v10 offset:13056                    // 0000000062E8: D9FE3300 5000000A
	ds_read_b128 v[84:87], v10 offset:13568                    // 0000000062F0: D9FE3500 5400000A
	ds_read_b128 v[88:91], v10 offset:15232                    // 0000000062F8: D9FE3B80 5800000A
	buffer_load_dword v44, v212, s[20:23], 0 idxen             // 000000006300: E0502000 80052CD4
	buffer_load_dword v45, v213, s[20:23], 0 idxen             // 000000006308: E0502000 80052DD5
	v_mfma_f32_16x16x16_bf16 v[136:139], v[60:61], a[38:39], v[136:139]// 000000006310: D3E10088 16224D3C
	v_perm_b32 v77, v53, v52, s64                              // 000000006318: D1ED004D 01026935
	v_perm_b32 v78, v55, v54, s63                              // 000000006320: D1ED004E 00FE6D37
	v_perm_b32 v79, v55, v54, s64                              // 000000006328: D1ED004F 01026D37
	v_mov_b32_dpp v129, v128 quad_perm:[1,1,1,1] row_mask:0xf bank_mask:0xf// 000000006330: 7F0202FA FF005580
	v_mov_b32_dpp v128, v128 quad_perm:[0,0,0,0] row_mask:0xf bank_mask:0xf// 000000006338: 7F0002FA FF000080
	v_mfma_f32_16x16x16_bf16 v[136:139], v[62:63], a[44:45], v[136:139]// 000000006340: D3E10088 1622593E
	ds_read_b128 v[92:95], v10 offset:15744                    // 000000006348: D9FE3D80 5C00000A
	ds_read_b128 v[96:99], v10 offset:17408                    // 000000006350: D9FE4400 6000000A
	ds_read_b128 v[100:103], v10 offset:17920                  // 000000006358: D9FE4600 6400000A
	buffer_load_dword v46, v212, s[20:23], 0 idxen offset:128  // 000000006360: E0502080 80052ED4
	buffer_load_dword v47, v213, s[20:23], 0 idxen offset:128  // 000000006368: E0502080 80052FD5
	v_mfma_f32_16x16x16_bf16 v[140:143], v[56:57], a[28:29], 0 // 000000006370: D3E1008C 12023938
	s_add_u32 s60, 64, s59                                     // 000000006378: 803C3BC0
	s_cmp_lt_u32 s60, s58                                      // 00000000637C: BF0A3A3C
	s_cselect_b32 s68, s68, 0                                  // 000000006380: 85448044
	s_cselect_b32 s97, s97, 0                                  // 000000006384: 85618061
	;; [unrolled: 1-line block ×3, first 2 shown]
	v_mfma_f32_16x16x16_bf16 v[140:143], v[58:59], a[34:35], v[140:143]// 00000000638C: D3E1008C 1632453A
	buffer_load_dword v9, s[24:27], 0 idxen lds                // 000000006394: E0512000 80060009
	v_mov_b32_e32 v36, 0                                       // 00000000639C: 7E480280
	s_mov_b64 exec, s[88:89]                                   // 0000000063A0: BEFE0158
	buffer_load_dword v36, v1, s[8:11], 0 idxen offset:256     // 0000000063A4: E0502100 80022401
	s_mov_b64 exec, s[86:87]                                   // 0000000063AC: BEFE0156
	v_mov_b32_e32 v37, 0                                       // 0000000063B0: 7E4A0280
	s_mov_b64 exec, s[88:89]                                   // 0000000063B4: BEFE0158
	buffer_load_dword v37, v2, s[8:11], 0 idxen offset:256     // 0000000063B8: E0502100 80022502
	s_mov_b64 exec, s[86:87]                                   // 0000000063C0: BEFE0156
	v_mfma_f32_16x16x16_bf16 v[140:143], v[60:61], a[40:41], v[140:143]// 0000000063C4: D3E1008C 1632513C
	v_mov_b32_e32 v48, 0                                       // 0000000063CC: 7E600280
	s_mov_b64 exec, s[88:89]                                   // 0000000063D0: BEFE0158
	buffer_load_dword v48, v212, s[20:23], 0 idxen offset:256  // 0000000063D4: E0502100 800530D4
	s_mov_b64 exec, s[86:87]                                   // 0000000063DC: BEFE0156
	v_mov_b32_e32 v49, 0                                       // 0000000063E0: 7E620280
	s_mov_b64 exec, s[88:89]                                   // 0000000063E4: BEFE0158
	buffer_load_dword v49, v213, s[20:23], 0 idxen offset:256  // 0000000063E8: E0502100 800531D5
	s_mov_b64 exec, s[86:87]                                   // 0000000063F0: BEFE0156
	v_add_u32_e32 v1, s68, v1                                  // 0000000063F4: 68020244
	v_add_u32_e32 v2, s68, v2                                  // 0000000063F8: 68040444
	v_add_u32_e32 v212, s97, v212                              // 0000000063FC: 69A9A861
	v_add_u32_e32 v213, s97, v213                              // 000000006400: 69ABAA61
	s_mov_b32 m0, s77                                          // 000000006404: BEFC004D
	v_add_u32_e32 v9, s69, v9                                  // 000000006408: 68121245
	v_mfma_f32_16x16x16_bf16 v[140:143], v[62:63], a[46:47], v[140:143]// 00000000640C: D3E1008C 16325D3E
	s_cmp_ge_u32 s59, 16                                       // 000000006414: BF09903B
	s_cselect_b32 s66, s67, s66                                // 000000006418: 85424243
	s_addk_i32 s59, 0x10                                       // 00000000641C: B73B0010
	s_nop 0                                                    // 000000006420: BF800000
	s_cmp_lt_i32 s59, s58                                      // 000000006424: BF043A3B
	s_cbranch_scc0 label_098C                                  // 000000006428: BF840001
	s_branch label_05FF                                        // 00000000642C: BF82FC73

0000000000006430 <label_098C>:
	s_nop 0                                                    // 000000006430: BF800000
	s_nop 0                                                    // 000000006434: BF800000
	s_branch label_0D1C                                        // 000000006438: BF82038D

000000000000643c <label_098F>:
	s_waitcnt lgkmcnt(0)                                       // 00000000643C: BF8CC07F
	s_barrier                                                  // 000000006440: BF8A0000
	v_mfma_f32_16x16x16_bf16 v[56:59], a[72:73], a[0:1], 0     // 000000006444: D3E10038 1A020148
	v_mul_f32_e32 v132, s47, v132                              // 00000000644C: 0B09082F
	v_mul_f32_e32 v133, s47, v133                              // 000000006450: 0B0B0A2F
	v_mul_f32_e32 v134, s47, v134                              // 000000006454: 0B0D0C2F
	v_mul_f32_e32 v135, s47, v135                              // 000000006458: 0B0F0E2F
	v_mfma_f32_16x16x16_bf16 v[56:59], a[74:75], a[2:3], v[56:59]// 00000000645C: D3E10038 1CE2054A
	ds_write_b32 v11, v50 offset:13056                         // 000000006464: D81A3300 0000320B
	ds_write_b32 v11, v51 offset:14112                         // 00000000646C: D81A3720 0000330B
	ds_write_b32 v11, v52 offset:15232                         // 000000006474: D81A3B80 0000340B
	v_mfma_f32_16x16x16_bf16 v[56:59], a[76:77], a[4:5], v[56:59]// 00000000647C: D3E10038 1CE2094C
	v_mul_f32_e32 v136, s47, v136                              // 000000006484: 0B11102F
	v_mul_f32_e32 v137, s47, v137                              // 000000006488: 0B13122F
	v_mul_f32_e32 v138, s47, v138                              // 00000000648C: 0B15142F
	v_mul_f32_e32 v139, s47, v139                              // 000000006490: 0B17162F
	v_mfma_f32_16x16x16_bf16 v[56:59], a[78:79], a[6:7], v[56:59]// 000000006494: D3E10038 1CE20D4E
	ds_write_b32 v11, v53 offset:16288                         // 00000000649C: D81A3FA0 0000350B
	ds_write_b32 v11, v54 offset:17408                         // 0000000064A4: D81A4400 0000360B
	ds_write_b32 v11, v55 offset:18464                         // 0000000064AC: D81A4820 0000370B
	v_mfma_f32_16x16x16_bf16 v[56:59], a[80:81], a[8:9], v[56:59]// 0000000064B4: D3E10038 1CE21150
	v_mul_f32_e32 v140, s47, v140                              // 0000000064BC: 0B19182F
	v_mul_f32_e32 v141, s47, v141                              // 0000000064C0: 0B1B1A2F
	v_mul_f32_e32 v142, s47, v142                              // 0000000064C4: 0B1D1C2F
	v_mul_f32_e32 v143, s47, v143                              // 0000000064C8: 0B1F1E2F
	v_mfma_f32_16x16x16_bf16 v[56:59], a[82:83], a[10:11], v[56:59]// 0000000064CC: D3E10038 1CE21552
	ds_write_b64 v20, v[132:133] offset:28416                  // 0000000064D4: D89A6F00 00008414
	ds_write_b64 v20, v[134:135] offset:28928                  // 0000000064DC: D89A7100 00008614
	v_mfma_f32_16x16x16_bf16 v[56:59], a[84:85], a[12:13], v[56:59]// 0000000064E4: D3E10038 1CE21954
	ds_write_b64 v20, v[136:137] offset:29440                  // 0000000064EC: D89A7300 00008814
	ds_write_b64 v20, v[138:139] offset:29952                  // 0000000064F4: D89A7500 00008A14
	v_mfma_f32_16x16x16_bf16 v[56:59], a[86:87], a[14:15], v[56:59]// 0000000064FC: D3E10038 1CE21D56
	ds_write_b64 v20, v[140:141] offset:30464                  // 000000006504: D89A7700 00008C14
	ds_write_b64 v20, v[142:143] offset:30976                  // 00000000650C: D89A7900 00008E14
	v_mfma_f32_16x16x16_bf16 v[56:59], a[88:89], a[16:17], v[56:59]// 000000006514: D3E10038 1CE22158
	ds_read_b128 v[104:107], v12 offset:19584                  // 00000000651C: D9FE4C80 6800000C
	v_mfma_f32_16x16x16_bf16 v[56:59], a[90:91], a[18:19], v[56:59]// 000000006524: D3E10038 1CE2255A
	ds_read_b128 v[108:111], v12 offset:20096                  // 00000000652C: D9FE4E80 6C00000C
	v_mfma_f32_16x16x16_bf16 v[56:59], a[92:93], a[20:21], v[56:59]// 000000006534: D3E10038 1CE2295C
	ds_read_b128 v[112:115], v12 offset:21760                  // 00000000653C: D9FE5500 7000000C
	ds_read_b128 v[116:119], v12 offset:22272                  // 000000006544: D9FE5700 7400000C
	v_mfma_f32_16x16x16_bf16 v[56:59], a[94:95], a[22:23], v[56:59]// 00000000654C: D3E10038 1CE22D5E
	ds_read_b128 v[120:123], v12 offset:23936                  // 000000006554: D9FE5D80 7800000C
	ds_read_b128 v[124:127], v12 offset:24448                  // 00000000655C: D9FE5F80 7C00000C
	s_cmp_lt_i32 s99, 64                                       // 000000006564: BF04C063
	s_cbranch_scc0 label_09EA                                  // 000000006568: BF84000F
	v_and_b32_e32 v28, 15, v0                                  // 00000000656C: 2638008F
	v_mul_i32_i24_e64 v29, s46, 16                             // 000000006570: D106001D 0001202E
	v_add_u32_e32 v28, v28, v29                                // 000000006578: 68383B1C
	v_cmp_lt_u32_e64 s[60:61], v28, s99                        // 00000000657C: D0C9003C 0000C71C
	s_nop 1                                                    // 000000006584: BF800001
	v_cndmask_b32_e64 v56, v159, v56, s[60:61]                 // 000000006588: D1000038 00F2719F
	v_cndmask_b32_e64 v57, v159, v57, s[60:61]                 // 000000006590: D1000039 00F2739F
	v_cndmask_b32_e64 v58, v159, v58, s[60:61]                 // 000000006598: D100003A 00F2759F
	v_cndmask_b32_e64 v59, v159, v59, s[60:61]                 // 0000000065A0: D100003B 00F2779F

00000000000065a8 <label_09EA>:
	s_waitcnt lgkmcnt(6)                                       // 0000000065A8: BF8CC67F
	s_barrier                                                  // 0000000065AC: BF8A0000
	v_mfma_f32_16x16x16_bf16 v[64:67], v[80:81], a[48:49], 0   // 0000000065B0: D3E10040 12026150
	v_fma_f32 v56, v56, s57, -v128                             // 0000000065B8: D1CB0038 86007338
	v_fma_f32 v57, v57, s57, -v129                             // 0000000065C0: D1CB0039 86047339
	v_fma_f32 v58, v58, s57, -v130                             // 0000000065C8: D1CB003A 8608733A
	v_fma_f32 v59, v59, s57, -v131                             // 0000000065D0: D1CB003B 860C733B
	v_mfma_f32_16x16x16_bf16 v[64:67], v[82:83], a[50:51], v[64:67]// 0000000065D8: D3E10040 15026552
	ds_read_b128 a[72:75], v12 offset:6528                     // 0000000065E0: DBFE1980 4800000C
	ds_read_b128 a[76:79], v12 offset:7040                     // 0000000065E8: DBFE1B80 4C00000C
	ds_write_b32 v11, v38                                      // 0000000065F0: D81A0000 0000260B
	ds_write_b32 v11, v39 offset:1056                          // 0000000065F8: D81A0420 0000270B
	v_mfma_f32_16x16x16_bf16 v[64:67], v[84:85], a[52:53], v[64:67]// 000000006600: D3E10040 15026954
	v_exp_f32_e32 v56, v56                                     // 000000006608: 7E704138
	v_mfma_f32_16x16x16_bf16 v[64:67], v[86:87], a[54:55], v[64:67]// 00000000660C: D3E10040 15026D56
	ds_read_b128 a[80:83], v12 offset:8704                     // 000000006614: DBFE2200 5000000C
	ds_read_b128 a[84:87], v12 offset:9216                     // 00000000661C: DBFE2400 5400000C
	ds_write_b32 v11, v40 offset:2176                          // 000000006624: D81A0880 0000280B
	v_mfma_f32_16x16x16_bf16 v[64:67], v[88:89], a[56:57], v[64:67]// 00000000662C: D3E10040 15027158
	v_exp_f32_e32 v57, v57                                     // 000000006634: 7E724139
	v_mfma_f32_16x16x16_bf16 v[64:67], v[90:91], a[58:59], v[64:67]// 000000006638: D3E10040 1502755A
	ds_read_b128 a[88:91], v12 offset:10880                    // 000000006640: DBFE2A80 5800000C
	ds_read_b128 a[92:95], v12 offset:11392                    // 000000006648: DBFE2C80 5C00000C
	ds_write_b32 v11, v41 offset:3232                          // 000000006650: D81A0CA0 0000290B
	v_mfma_f32_16x16x16_bf16 v[64:67], v[92:93], a[60:61], v[64:67]// 000000006658: D3E10040 1502795C
	v_exp_f32_e32 v58, v58                                     // 000000006660: 7E74413A
	v_mfma_f32_16x16x16_bf16 v[64:67], v[94:95], a[62:63], v[64:67]// 000000006664: D3E10040 15027D5E
	ds_read_b64 v[144:145], v19 offset:28416                   // 00000000666C: D8EC6F00 90000013
	ds_read_b64 v[146:147], v19 offset:30464                   // 000000006674: D8EC7700 92000013
	ds_read_b64 v[148:149], v19 offset:32512                   // 00000000667C: D8EC7F00 94000013
	ds_write_b32 v11, v42 offset:4352                          // 000000006684: D81A1100 00002A0B
	v_mfma_f32_16x16x16_bf16 v[64:67], v[96:97], a[64:65], v[64:67]// 00000000668C: D3E10040 15028160
	v_exp_f32_e32 v59, v59                                     // 000000006694: 7E76413B
	v_mfma_f32_16x16x16_bf16 v[64:67], v[98:99], a[66:67], v[64:67]// 000000006698: D3E10040 15028562
	ds_read_b64 v[150:151], v19 offset:34560                   // 0000000066A0: D8EC8700 96000013
	ds_read_b64 v[152:153], v19 offset:36608                   // 0000000066A8: D8EC8F00 98000013
	ds_read_b64 v[154:155], v19 offset:38656                   // 0000000066B0: D8EC9700 9A000013
	ds_write_b32 v11, v43 offset:5408                          // 0000000066B8: D81A1520 00002B0B
	v_mfma_f32_16x16x16_bf16 v[64:67], v[100:101], a[68:69], v[64:67]// 0000000066C0: D3E10040 15028964
	v_perm_b32 v156, v57, v56, s64                             // 0000000066C8: D1ED009C 01027139
	v_mfma_f32_16x16x16_bf16 v[64:67], v[102:103], a[70:71], v[64:67]// 0000000066D0: D3E10040 15028D66
	v_perm_b32 v157, v59, v58, s64                             // 0000000066D8: D1ED009D 0102753B
	v_add_u32_e32 v7, s66, v7                                  // 0000000066E0: 680E0E42
	v_add_u32_e32 v8, s66, v8                                  // 0000000066E4: 68101042
	s_waitcnt lgkmcnt(0)                                       // 0000000066E8: BF8CC07F
	s_barrier                                                  // 0000000066EC: BF8A0000
	v_mfma_f32_16x16x16_bf16 v[160:163], v[104:105], v[156:157], v[160:163]// 0000000066F0: D3E100A0 06833968
	v_subrev_f32_dpp v64, v158, v64 quad_perm:[0,0,0,0] row_mask:0xf bank_mask:0xf// 0000000066F8: 068080FA FF00009E
	v_subrev_f32_dpp v65, v158, v65 quad_perm:[1,1,1,1] row_mask:0xf bank_mask:0xf// 000000006700: 068282FA FF00559E
	buffer_atomic_add_f32 v144, v7, s[32:35], 0 offen          // 000000006708: E1341000 80089007
	v_mfma_f32_16x16x16_bf16 v[164:167], v[106:107], v[156:157], v[164:167]// 000000006710: D3E100A4 0693396A
	v_subrev_f32_dpp v66, v158, v66 quad_perm:[2,2,2,2] row_mask:0xf bank_mask:0xf// 000000006718: 068484FA FF00AA9E
	v_subrev_f32_dpp v67, v158, v67 quad_perm:[3,3,3,3] row_mask:0xf bank_mask:0xf// 000000006720: 068686FA FF00FF9E
	buffer_atomic_add_f32 v145, v8, s[32:35], 0 offen          // 000000006728: E1341000 80089108
	v_mfma_f32_16x16x16_bf16 v[168:171], v[108:109], v[156:157], v[168:171]// 000000006730: D3E100A8 06A3396C
	v_mul_f32_e32 v64, v56, v64                                // 000000006738: 0A808138
	v_mul_f32_e32 v65, v57, v65                                // 00000000673C: 0A828339
	buffer_atomic_add_f32 v146, v7, s[32:35], 0 offen offset:128// 000000006740: E1341080 80089207
	v_mfma_f32_16x16x16_bf16 v[172:175], v[110:111], v[156:157], v[172:175]// 000000006748: D3E100AC 06B3396E
	v_mul_f32_e32 v66, v58, v66                                // 000000006750: 0A84853A
	v_mul_f32_e32 v67, v59, v67                                // 000000006754: 0A86873B
	buffer_atomic_add_f32 v147, v8, s[32:35], 0 offen offset:128// 000000006758: E1341080 80089308
	v_mfma_f32_16x16x16_bf16 v[176:179], v[112:113], v[156:157], v[176:179]// 000000006760: D3E100B0 06C33970
	v_perm_b32 v64, v65, v64, s64                              // 000000006768: D1ED0040 01028141
	v_mfma_f32_16x16x16_bf16 v[180:183], v[114:115], v[156:157], v[180:183]// 000000006770: D3E100B4 06D33972
	v_perm_b32 v65, v67, v66, s64                              // 000000006778: D1ED0041 01028543
	v_mfma_f32_16x16x16_bf16 v[184:187], v[116:117], v[156:157], v[184:187]// 000000006780: D3E100B8 06E33974
	v_mov_b32_dpp v16, v64 quad_perm:[1,0,3,2] row_mask:0xf bank_mask:0xf// 000000006788: 7E2002FA FF00B140
	v_perm_b32 v56, v16, v64, v15                              // 000000006790: D1ED0038 043E8110
	buffer_atomic_add_f32 v148, v7, s[32:35], 0 offen offset:256// 000000006798: E1341100 80089407
	v_mfma_f32_16x16x16_bf16 v[188:191], v[118:119], v[156:157], v[188:191]// 0000000067A0: D3E100BC 06F33976
	v_mov_b32_dpp v16, v65 quad_perm:[1,0,3,2] row_mask:0xf bank_mask:0xf// 0000000067A8: 7E2002FA FF00B141
	v_perm_b32 v57, v16, v65, v15                              // 0000000067B0: D1ED0039 043E8310
	buffer_atomic_add_f32 v149, v8, s[32:35], 0 offen offset:256// 0000000067B8: E1341100 80089508
	v_mfma_f32_16x16x16_bf16 v[192:195], v[120:121], v[156:157], v[192:195]// 0000000067C0: D3E100C0 07033978
	ds_write_b32 v13, v68 offset:6528                          // 0000000067C8: D81A1980 0000440D
	ds_write_b32 v13, v69 offset:7584                          // 0000000067D0: D81A1DA0 0000450D
	v_mfma_f32_16x16x16_bf16 v[196:199], v[122:123], v[156:157], v[196:199]// 0000000067D8: D3E100C4 0713397A
	ds_write_b32 v18, v56 offset:26112                         // 0000000067E0: D81A6600 00003812
	ds_write_b32 v18, v57 offset:26656                         // 0000000067E8: D81A6820 00003912
	v_mfma_f32_16x16x16_bf16 v[200:203], v[124:125], v[156:157], v[200:203]// 0000000067F0: D3E100C8 0723397C
	ds_write_b32 v13, v70 offset:8704                          // 0000000067F8: D81A2200 0000460D
	ds_write_b32 v13, v71 offset:9760                          // 000000006800: D81A2620 0000470D
	v_mfma_f32_16x16x16_bf16 v[204:207], v[126:127], v[156:157], v[204:207]// 000000006808: D3E100CC 0733397E
	ds_write_b32 v13, v72 offset:10880                         // 000000006810: D81A2A80 0000480D
	ds_write_b32 v13, v73 offset:11936                         // 000000006818: D81A2EA0 0000490D
	s_barrier                                                  // 000000006820: BF8A0000
	v_mfma_f32_16x16x16_bf16 a[96:99], a[72:73], v[64:65], a[96:99]// 000000006824: D3E18060 0D828148
	ds_read_b32 v128, v21 offset:41216                         // 00000000682C: D86CA100 80000015
	ds_read_b32 v158, v21 offset:41472                         // 000000006834: D86CA200 9E000015
	v_mfma_f32_16x16x16_bf16 a[100:103], a[74:75], v[64:65], a[100:103]// 00000000683C: D3E18064 0D92814A
	buffer_atomic_add_f32 v150, v7, s[32:35], 0 offen offset:384// 000000006844: E1341180 80089607
	buffer_atomic_add_f32 v151, v8, s[32:35], 0 offen offset:384// 00000000684C: E1341180 80089708
	v_mfma_f32_16x16x16_bf16 a[104:107], a[76:77], v[64:65], a[104:107]// 000000006854: D3E18068 0DA2814C
	s_waitcnt lgkmcnt(6)                                       // 00000000685C: BF8CC67F
	s_barrier                                                  // 000000006860: BF8A0000
	v_mfma_f32_16x16x16_bf16 a[108:111], a[78:79], v[64:65], a[108:111]// 000000006864: D3E1806C 0DB2814E
	s_mov_b64 exec, s[92:93]                                   // 00000000686C: BEFE015C
	buffer_atomic_add_f32 v152, v7, s[32:35], 0 offen offset:512// 000000006870: E1341200 80089807
	s_mov_b64 exec, s[86:87]                                   // 000000006878: BEFE0156
	v_mfma_f32_16x16x16_bf16 a[112:115], a[80:81], v[64:65], a[112:115]// 00000000687C: D3E18070 0DC28150
	ds_read_b128 v[56:59], v17 offset:26112                    // 000000006884: D9FE6600 38000011
	v_mfma_f32_16x16x16_bf16 a[116:119], a[82:83], v[64:65], a[116:119]// 00000000688C: D3E18074 0DD28152
	s_mov_b64 exec, s[92:93]                                   // 000000006894: BEFE015C
	buffer_atomic_add_f32 v153, v8, s[32:35], 0 offen offset:512// 000000006898: E1341200 80089908
	s_mov_b64 exec, s[86:87]                                   // 0000000068A0: BEFE0156
	v_mfma_f32_16x16x16_bf16 a[120:123], a[84:85], v[64:65], a[120:123]// 0000000068A4: D3E18078 0DE28154
	ds_read_b128 v[60:63], v17 offset:27264                    // 0000000068AC: D9FE6A80 3C000011
	v_mfma_f32_16x16x16_bf16 a[124:127], a[86:87], v[64:65], a[124:127]// 0000000068B4: D3E1807C 0DF28156
	s_mov_b64 exec, s[94:95]                                   // 0000000068BC: BEFE015E
	buffer_atomic_add_f32 v154, v7, s[32:35], 0 offen offset:640// 0000000068C0: E1341280 80089A07
	s_mov_b64 exec, s[86:87]                                   // 0000000068C8: BEFE0156
	v_mfma_f32_16x16x16_bf16 a[128:131], a[88:89], v[64:65], a[128:131]// 0000000068CC: D3E18080 0E028158
	ds_write_b32 v13, v74 offset:19584                         // 0000000068D4: D81A4C80 00004A0D
	ds_write_b32 v13, v75 offset:20640                         // 0000000068DC: D81A50A0 00004B0D
	v_mfma_f32_16x16x16_bf16 a[132:135], a[90:91], v[64:65], a[132:135]// 0000000068E4: D3E18084 0E12815A
	s_mov_b64 exec, s[94:95]                                   // 0000000068EC: BEFE015E
	buffer_atomic_add_f32 v155, v8, s[32:35], 0 offen offset:640// 0000000068F0: E1341280 80089B08
	s_mov_b64 exec, s[86:87]                                   // 0000000068F8: BEFE0156
	v_mfma_f32_16x16x16_bf16 a[136:139], a[92:93], v[64:65], a[136:139]// 0000000068FC: D3E18088 0E22815C
	ds_write_b32 v13, v76 offset:21760                         // 000000006904: D81A5500 00004C0D
	ds_write_b32 v13, v77 offset:22816                         // 00000000690C: D81A5920 00004D0D
	v_mfma_f32_16x16x16_bf16 a[140:143], a[94:95], v[64:65], a[140:143]// 000000006914: D3E1808C 0E32815E
	ds_write_b32 v13, v78 offset:23936                         // 00000000691C: D81A5D80 00004E0D
	ds_write_b32 v13, v79 offset:24992                         // 000000006924: D81A61A0 00004F0D
	s_waitcnt vmcnt(12) lgkmcnt(6)                             // 00000000692C: BF8C067C
	s_barrier                                                  // 000000006930: BF8A0000
	v_mfma_f32_16x16x16_bf16 v[132:135], v[56:57], a[24:25], 0 // 000000006934: D3E10084 12023138
	ds_read_b128 a[72:75], v10                                 // 00000000693C: DBFE0000 4800000A
	ds_read_b128 a[76:79], v10 offset:512                      // 000000006944: DBFE0200 4C00000A
	ds_read_b128 a[80:83], v10 offset:2176                     // 00000000694C: DBFE0880 5000000A
	buffer_load_dword v38, v1, s[8:11], 0 idxen                // 000000006954: E0502000 80022601
	buffer_load_dword v39, v2, s[8:11], 0 idxen                // 00000000695C: E0502000 80022702
	v_mfma_f32_16x16x16_bf16 v[132:135], v[58:59], a[30:31], v[132:135]// 000000006964: D3E10084 16123D3A
	v_mul_f32_e32 v128, s48, v128                              // 00000000696C: 0B010030
	v_perm_b32 v68, v33, v32, s63                              // 000000006970: D1ED0044 00FE4121
	v_perm_b32 v69, v33, v32, s64                              // 000000006978: D1ED0045 01024121
	v_perm_b32 v70, v35, v34, s63                              // 000000006980: D1ED0046 00FE4523
	v_mfma_f32_16x16x16_bf16 v[132:135], v[60:61], a[36:37], v[132:135]// 000000006988: D3E10084 1612493C
	ds_read_b128 a[84:87], v10 offset:2688                     // 000000006990: DBFE0A80 5400000A
	ds_read_b128 a[88:91], v10 offset:4352                     // 000000006998: DBFE1100 5800000A
	ds_read_b128 a[92:95], v10 offset:4864                     // 0000000069A0: DBFE1300 5C00000A
	buffer_load_dword v40, v1, s[8:11], 0 idxen offset:128     // 0000000069A8: E0502080 80022801
	buffer_load_dword v41, v2, s[8:11], 0 idxen offset:128     // 0000000069B0: E0502080 80022902
	v_mfma_f32_16x16x16_bf16 v[132:135], v[62:63], a[42:43], v[132:135]// 0000000069B8: D3E10084 1612553E
	v_perm_b32 v71, v35, v34, s64                              // 0000000069C0: D1ED0047 01024523
	v_perm_b32 v72, v37, v36, s63                              // 0000000069C8: D1ED0048 00FE4925
	v_perm_b32 v73, v37, v36, s64                              // 0000000069D0: D1ED0049 01024925
	v_mfma_f32_16x16x16_bf16 v[136:139], v[56:57], a[26:27], 0 // 0000000069D8: D3E10088 12023538
	ds_read_b128 v[80:83], v10 offset:13056                    // 0000000069E0: D9FE3300 5000000A
	ds_read_b128 v[84:87], v10 offset:13568                    // 0000000069E8: D9FE3500 5400000A
	ds_read_b128 v[88:91], v10 offset:15232                    // 0000000069F0: D9FE3B80 5800000A
	buffer_load_dword v50, v212, s[20:23], 0 idxen             // 0000000069F8: E0502000 800532D4
	buffer_load_dword v51, v213, s[20:23], 0 idxen             // 000000006A00: E0502000 800533D5
	v_mfma_f32_16x16x16_bf16 v[136:139], v[58:59], a[32:33], v[136:139]// 000000006A08: D3E10088 1622413A
	v_perm_b32 v74, v45, v44, s63                              // 000000006A10: D1ED004A 00FE592D
	v_perm_b32 v75, v45, v44, s64                              // 000000006A18: D1ED004B 0102592D
	v_perm_b32 v76, v47, v46, s63                              // 000000006A20: D1ED004C 00FE5D2F
	v_mov_b32_dpp v131, v128 quad_perm:[3,3,3,3] row_mask:0xf bank_mask:0xf// 000000006A28: 7F0602FA FF00FF80
	v_mov_b32_dpp v130, v128 quad_perm:[2,2,2,2] row_mask:0xf bank_mask:0xf// 000000006A30: 7F0402FA FF00AA80
	v_mfma_f32_16x16x16_bf16 v[136:139], v[60:61], a[38:39], v[136:139]// 000000006A38: D3E10088 16224D3C
	ds_read_b128 v[92:95], v10 offset:15744                    // 000000006A40: D9FE3D80 5C00000A
	ds_read_b128 v[96:99], v10 offset:17408                    // 000000006A48: D9FE4400 6000000A
	ds_read_b128 v[100:103], v10 offset:17920                  // 000000006A50: D9FE4600 6400000A
	buffer_load_dword v52, v212, s[20:23], 0 idxen offset:128  // 000000006A58: E0502080 800534D4
	buffer_load_dword v53, v213, s[20:23], 0 idxen offset:128  // 000000006A60: E0502080 800535D5
	v_mfma_f32_16x16x16_bf16 v[136:139], v[62:63], a[44:45], v[136:139]// 000000006A68: D3E10088 1622593E
	v_perm_b32 v77, v47, v46, s64                              // 000000006A70: D1ED004D 01025D2F
	v_perm_b32 v78, v49, v48, s63                              // 000000006A78: D1ED004E 00FE6131
	v_perm_b32 v79, v49, v48, s64                              // 000000006A80: D1ED004F 01026131
	v_mov_b32_dpp v129, v128 quad_perm:[1,1,1,1] row_mask:0xf bank_mask:0xf// 000000006A88: 7F0202FA FF005580
	v_mov_b32_dpp v128, v128 quad_perm:[0,0,0,0] row_mask:0xf bank_mask:0xf// 000000006A90: 7F0002FA FF000080
	v_mfma_f32_16x16x16_bf16 v[140:143], v[56:57], a[28:29], 0 // 000000006A98: D3E1008C 12023938
	buffer_load_dword v9, s[24:27], 0 idxen lds                // 000000006AA0: E0512000 80060009
	v_mov_b32_e32 v42, 0                                       // 000000006AA8: 7E540280
	s_mov_b64 exec, s[88:89]                                   // 000000006AAC: BEFE0158
	buffer_load_dword v42, v1, s[8:11], 0 idxen offset:256     // 000000006AB0: E0502100 80022A01
	s_mov_b64 exec, s[86:87]                                   // 000000006AB8: BEFE0156
	v_mov_b32_e32 v43, 0                                       // 000000006ABC: 7E560280
	s_mov_b64 exec, s[88:89]                                   // 000000006AC0: BEFE0158
	buffer_load_dword v43, v2, s[8:11], 0 idxen offset:256     // 000000006AC4: E0502100 80022B02
	s_mov_b64 exec, s[86:87]                                   // 000000006ACC: BEFE0156
	v_mfma_f32_16x16x16_bf16 v[140:143], v[58:59], a[34:35], v[140:143]// 000000006AD0: D3E1008C 1632453A
	s_add_u32 s60, 64, s59                                     // 000000006AD8: 803C3BC0
	s_cmp_lt_u32 s60, s58                                      // 000000006ADC: BF0A3A3C
	s_cselect_b32 s68, s68, 0                                  // 000000006AE0: 85448044
	s_cselect_b32 s97, s97, 0                                  // 000000006AE4: 85618061
	s_cselect_b32 s69, s69, 0                                  // 000000006AE8: 85458045
	v_mfma_f32_16x16x16_bf16 v[140:143], v[60:61], a[40:41], v[140:143]// 000000006AEC: D3E1008C 1632513C
	v_mov_b32_e32 v54, 0                                       // 000000006AF4: 7E6C0280
	s_mov_b64 exec, s[88:89]                                   // 000000006AF8: BEFE0158
	buffer_load_dword v54, v212, s[20:23], 0 idxen offset:256  // 000000006AFC: E0502100 800536D4
	s_mov_b64 exec, s[86:87]                                   // 000000006B04: BEFE0156
	v_mov_b32_e32 v55, 0                                       // 000000006B08: 7E6E0280
	s_mov_b64 exec, s[88:89]                                   // 000000006B0C: BEFE0158
	buffer_load_dword v55, v213, s[20:23], 0 idxen offset:256  // 000000006B10: E0502100 800537D5
	s_mov_b64 exec, s[86:87]                                   // 000000006B18: BEFE0156
	v_add_u32_e32 v1, s68, v1                                  // 000000006B1C: 68020244
	v_add_u32_e32 v2, s68, v2                                  // 000000006B20: 68040444
	v_add_u32_e32 v212, s97, v212                              // 000000006B24: 69A9A861
	v_add_u32_e32 v213, s97, v213                              // 000000006B28: 69ABAA61
	s_mov_b32 m0, s76                                          // 000000006B2C: BEFC004C
	v_add_u32_e32 v9, s69, v9                                  // 000000006B30: 68121245
	v_mfma_f32_16x16x16_bf16 v[140:143], v[62:63], a[46:47], v[140:143]// 000000006B34: D3E1008C 16325D3E
	s_cmp_ge_u32 s59, 16                                       // 000000006B3C: BF09903B
	s_cselect_b32 s66, s67, s66                                // 000000006B40: 85424243
	s_addk_i32 s59, 0x10                                       // 000000006B44: B73B0010
	s_nop 0                                                    // 000000006B48: BF800000
	s_cmp_lt_i32 s59, s58                                      // 000000006B4C: BF043A3B
	s_cbranch_scc0 label_098C                                  // 000000006B50: BF84FE37
	s_waitcnt lgkmcnt(0)                                       // 000000006B54: BF8CC07F
	s_barrier                                                  // 000000006B58: BF8A0000
	v_mfma_f32_16x16x16_bf16 v[56:59], a[72:73], a[0:1], 0     // 000000006B5C: D3E10038 1A020148
	v_mul_f32_e32 v132, s47, v132                              // 000000006B64: 0B09082F
	v_mul_f32_e32 v133, s47, v133                              // 000000006B68: 0B0B0A2F
	v_mul_f32_e32 v134, s47, v134                              // 000000006B6C: 0B0D0C2F
	v_mul_f32_e32 v135, s47, v135                              // 000000006B70: 0B0F0E2F
	v_mfma_f32_16x16x16_bf16 v[56:59], a[74:75], a[2:3], v[56:59]// 000000006B74: D3E10038 1CE2054A
	ds_write_b32 v11, v44 offset:13056                         // 000000006B7C: D81A3300 00002C0B
	ds_write_b32 v11, v45 offset:14112                         // 000000006B84: D81A3720 00002D0B
	ds_write_b32 v11, v46 offset:15232                         // 000000006B8C: D81A3B80 00002E0B
	v_mfma_f32_16x16x16_bf16 v[56:59], a[76:77], a[4:5], v[56:59]// 000000006B94: D3E10038 1CE2094C
	v_mul_f32_e32 v136, s47, v136                              // 000000006B9C: 0B11102F
	v_mul_f32_e32 v137, s47, v137                              // 000000006BA0: 0B13122F
	v_mul_f32_e32 v138, s47, v138                              // 000000006BA4: 0B15142F
	v_mul_f32_e32 v139, s47, v139                              // 000000006BA8: 0B17162F
	v_mfma_f32_16x16x16_bf16 v[56:59], a[78:79], a[6:7], v[56:59]// 000000006BAC: D3E10038 1CE20D4E
	ds_write_b32 v11, v47 offset:16288                         // 000000006BB4: D81A3FA0 00002F0B
	ds_write_b32 v11, v48 offset:17408                         // 000000006BBC: D81A4400 0000300B
	ds_write_b32 v11, v49 offset:18464                         // 000000006BC4: D81A4820 0000310B
	v_mfma_f32_16x16x16_bf16 v[56:59], a[80:81], a[8:9], v[56:59]// 000000006BCC: D3E10038 1CE21150
	v_mul_f32_e32 v140, s47, v140                              // 000000006BD4: 0B19182F
	v_mul_f32_e32 v141, s47, v141                              // 000000006BD8: 0B1B1A2F
	v_mul_f32_e32 v142, s47, v142                              // 000000006BDC: 0B1D1C2F
	v_mul_f32_e32 v143, s47, v143                              // 000000006BE0: 0B1F1E2F
	v_mfma_f32_16x16x16_bf16 v[56:59], a[82:83], a[10:11], v[56:59]// 000000006BE4: D3E10038 1CE21552
	ds_write_b64 v20, v[132:133] offset:28416                  // 000000006BEC: D89A6F00 00008414
	ds_write_b64 v20, v[134:135] offset:28928                  // 000000006BF4: D89A7100 00008614
	v_mfma_f32_16x16x16_bf16 v[56:59], a[84:85], a[12:13], v[56:59]// 000000006BFC: D3E10038 1CE21954
	ds_write_b64 v20, v[136:137] offset:29440                  // 000000006C04: D89A7300 00008814
	ds_write_b64 v20, v[138:139] offset:29952                  // 000000006C0C: D89A7500 00008A14
	v_mfma_f32_16x16x16_bf16 v[56:59], a[86:87], a[14:15], v[56:59]// 000000006C14: D3E10038 1CE21D56
	ds_write_b64 v20, v[140:141] offset:30464                  // 000000006C1C: D89A7700 00008C14
	ds_write_b64 v20, v[142:143] offset:30976                  // 000000006C24: D89A7900 00008E14
	v_mfma_f32_16x16x16_bf16 v[56:59], a[88:89], a[16:17], v[56:59]// 000000006C2C: D3E10038 1CE22158
	ds_read_b128 v[104:107], v12 offset:19584                  // 000000006C34: D9FE4C80 6800000C
	v_mfma_f32_16x16x16_bf16 v[56:59], a[90:91], a[18:19], v[56:59]// 000000006C3C: D3E10038 1CE2255A
	ds_read_b128 v[108:111], v12 offset:20096                  // 000000006C44: D9FE4E80 6C00000C
	v_mfma_f32_16x16x16_bf16 v[56:59], a[92:93], a[20:21], v[56:59]// 000000006C4C: D3E10038 1CE2295C
	ds_read_b128 v[112:115], v12 offset:21760                  // 000000006C54: D9FE5500 7000000C
	ds_read_b128 v[116:119], v12 offset:22272                  // 000000006C5C: D9FE5700 7400000C
	v_mfma_f32_16x16x16_bf16 v[56:59], a[94:95], a[22:23], v[56:59]// 000000006C64: D3E10038 1CE22D5E
	ds_read_b128 v[120:123], v12 offset:23936                  // 000000006C6C: D9FE5D80 7800000C
	ds_read_b128 v[124:127], v12 offset:24448                  // 000000006C74: D9FE5F80 7C00000C
	s_cmp_lt_i32 s99, 64                                       // 000000006C7C: BF04C063
	s_cbranch_scc0 label_0BB0                                  // 000000006C80: BF84000F
	v_and_b32_e32 v28, 15, v0                                  // 000000006C84: 2638008F
	v_mul_i32_i24_e64 v29, s46, 16                             // 000000006C88: D106001D 0001202E
	v_add_u32_e32 v28, v28, v29                                // 000000006C90: 68383B1C
	v_cmp_lt_u32_e64 s[60:61], v28, s99                        // 000000006C94: D0C9003C 0000C71C
	s_nop 1                                                    // 000000006C9C: BF800001
	v_cndmask_b32_e64 v56, v159, v56, s[60:61]                 // 000000006CA0: D1000038 00F2719F
	v_cndmask_b32_e64 v57, v159, v57, s[60:61]                 // 000000006CA8: D1000039 00F2739F
	v_cndmask_b32_e64 v58, v159, v58, s[60:61]                 // 000000006CB0: D100003A 00F2759F
	v_cndmask_b32_e64 v59, v159, v59, s[60:61]                 // 000000006CB8: D100003B 00F2779F

0000000000006cc0 <label_0BB0>:
	s_waitcnt lgkmcnt(6)                                       // 000000006CC0: BF8CC67F
	s_barrier                                                  // 000000006CC4: BF8A0000
	v_mfma_f32_16x16x16_bf16 v[64:67], v[80:81], a[48:49], 0   // 000000006CC8: D3E10040 12026150
	v_fma_f32 v56, v56, s57, -v128                             // 000000006CD0: D1CB0038 86007338
	v_fma_f32 v57, v57, s57, -v129                             // 000000006CD8: D1CB0039 86047339
	v_fma_f32 v58, v58, s57, -v130                             // 000000006CE0: D1CB003A 8608733A
	v_fma_f32 v59, v59, s57, -v131                             // 000000006CE8: D1CB003B 860C733B
	v_mfma_f32_16x16x16_bf16 v[64:67], v[82:83], a[50:51], v[64:67]// 000000006CF0: D3E10040 15026552
	ds_read_b128 a[72:75], v12 offset:6528                     // 000000006CF8: DBFE1980 4800000C
	ds_read_b128 a[76:79], v12 offset:7040                     // 000000006D00: DBFE1B80 4C00000C
	ds_write_b32 v11, v32                                      // 000000006D08: D81A0000 0000200B
	ds_write_b32 v11, v33 offset:1056                          // 000000006D10: D81A0420 0000210B
	v_mfma_f32_16x16x16_bf16 v[64:67], v[84:85], a[52:53], v[64:67]// 000000006D18: D3E10040 15026954
	v_exp_f32_e32 v56, v56                                     // 000000006D20: 7E704138
	v_mfma_f32_16x16x16_bf16 v[64:67], v[86:87], a[54:55], v[64:67]// 000000006D24: D3E10040 15026D56
	ds_read_b128 a[80:83], v12 offset:8704                     // 000000006D2C: DBFE2200 5000000C
	ds_read_b128 a[84:87], v12 offset:9216                     // 000000006D34: DBFE2400 5400000C
	ds_write_b32 v11, v34 offset:2176                          // 000000006D3C: D81A0880 0000220B
	v_mfma_f32_16x16x16_bf16 v[64:67], v[88:89], a[56:57], v[64:67]// 000000006D44: D3E10040 15027158
	v_exp_f32_e32 v57, v57                                     // 000000006D4C: 7E724139
	v_mfma_f32_16x16x16_bf16 v[64:67], v[90:91], a[58:59], v[64:67]// 000000006D50: D3E10040 1502755A
	ds_read_b128 a[88:91], v12 offset:10880                    // 000000006D58: DBFE2A80 5800000C
	ds_read_b128 a[92:95], v12 offset:11392                    // 000000006D60: DBFE2C80 5C00000C
	ds_write_b32 v11, v35 offset:3232                          // 000000006D68: D81A0CA0 0000230B
	v_mfma_f32_16x16x16_bf16 v[64:67], v[92:93], a[60:61], v[64:67]// 000000006D70: D3E10040 1502795C
	v_exp_f32_e32 v58, v58                                     // 000000006D78: 7E74413A
	v_mfma_f32_16x16x16_bf16 v[64:67], v[94:95], a[62:63], v[64:67]// 000000006D7C: D3E10040 15027D5E
	ds_read_b64 v[144:145], v19 offset:28416                   // 000000006D84: D8EC6F00 90000013
	ds_read_b64 v[146:147], v19 offset:30464                   // 000000006D8C: D8EC7700 92000013
	ds_read_b64 v[148:149], v19 offset:32512                   // 000000006D94: D8EC7F00 94000013
	ds_write_b32 v11, v36 offset:4352                          // 000000006D9C: D81A1100 0000240B
	v_mfma_f32_16x16x16_bf16 v[64:67], v[96:97], a[64:65], v[64:67]// 000000006DA4: D3E10040 15028160
	v_exp_f32_e32 v59, v59                                     // 000000006DAC: 7E76413B
	v_mfma_f32_16x16x16_bf16 v[64:67], v[98:99], a[66:67], v[64:67]// 000000006DB0: D3E10040 15028562
	ds_read_b64 v[150:151], v19 offset:34560                   // 000000006DB8: D8EC8700 96000013
	ds_read_b64 v[152:153], v19 offset:36608                   // 000000006DC0: D8EC8F00 98000013
	ds_read_b64 v[154:155], v19 offset:38656                   // 000000006DC8: D8EC9700 9A000013
	ds_write_b32 v11, v37 offset:5408                          // 000000006DD0: D81A1520 0000250B
	v_mfma_f32_16x16x16_bf16 v[64:67], v[100:101], a[68:69], v[64:67]// 000000006DD8: D3E10040 15028964
	v_perm_b32 v156, v57, v56, s64                             // 000000006DE0: D1ED009C 01027139
	v_mfma_f32_16x16x16_bf16 v[64:67], v[102:103], a[70:71], v[64:67]// 000000006DE8: D3E10040 15028D66
	v_perm_b32 v157, v59, v58, s64                             // 000000006DF0: D1ED009D 0102753B
	v_add_u32_e32 v7, s66, v7                                  // 000000006DF8: 680E0E42
	v_add_u32_e32 v8, s66, v8                                  // 000000006DFC: 68101042
	s_waitcnt lgkmcnt(0)                                       // 000000006E00: BF8CC07F
	s_barrier                                                  // 000000006E04: BF8A0000
	v_mfma_f32_16x16x16_bf16 v[160:163], v[104:105], v[156:157], v[160:163]// 000000006E08: D3E100A0 06833968
	v_subrev_f32_dpp v64, v158, v64 quad_perm:[0,0,0,0] row_mask:0xf bank_mask:0xf// 000000006E10: 068080FA FF00009E
	v_subrev_f32_dpp v65, v158, v65 quad_perm:[1,1,1,1] row_mask:0xf bank_mask:0xf// 000000006E18: 068282FA FF00559E
	buffer_atomic_add_f32 v144, v7, s[32:35], 0 offen          // 000000006E20: E1341000 80089007
	v_mfma_f32_16x16x16_bf16 v[164:167], v[106:107], v[156:157], v[164:167]// 000000006E28: D3E100A4 0693396A
	v_subrev_f32_dpp v66, v158, v66 quad_perm:[2,2,2,2] row_mask:0xf bank_mask:0xf// 000000006E30: 068484FA FF00AA9E
	v_subrev_f32_dpp v67, v158, v67 quad_perm:[3,3,3,3] row_mask:0xf bank_mask:0xf// 000000006E38: 068686FA FF00FF9E
	buffer_atomic_add_f32 v145, v8, s[32:35], 0 offen          // 000000006E40: E1341000 80089108
	v_mfma_f32_16x16x16_bf16 v[168:171], v[108:109], v[156:157], v[168:171]// 000000006E48: D3E100A8 06A3396C
	v_mul_f32_e32 v64, v56, v64                                // 000000006E50: 0A808138
	v_mul_f32_e32 v65, v57, v65                                // 000000006E54: 0A828339
	buffer_atomic_add_f32 v146, v7, s[32:35], 0 offen offset:128// 000000006E58: E1341080 80089207
	v_mfma_f32_16x16x16_bf16 v[172:175], v[110:111], v[156:157], v[172:175]// 000000006E60: D3E100AC 06B3396E
	v_mul_f32_e32 v66, v58, v66                                // 000000006E68: 0A84853A
	v_mul_f32_e32 v67, v59, v67                                // 000000006E6C: 0A86873B
	buffer_atomic_add_f32 v147, v8, s[32:35], 0 offen offset:128// 000000006E70: E1341080 80089308
	v_mfma_f32_16x16x16_bf16 v[176:179], v[112:113], v[156:157], v[176:179]// 000000006E78: D3E100B0 06C33970
	v_perm_b32 v64, v65, v64, s64                              // 000000006E80: D1ED0040 01028141
	v_mfma_f32_16x16x16_bf16 v[180:183], v[114:115], v[156:157], v[180:183]// 000000006E88: D3E100B4 06D33972
	v_perm_b32 v65, v67, v66, s64                              // 000000006E90: D1ED0041 01028543
	v_mfma_f32_16x16x16_bf16 v[184:187], v[116:117], v[156:157], v[184:187]// 000000006E98: D3E100B8 06E33974
	v_mov_b32_dpp v16, v64 quad_perm:[1,0,3,2] row_mask:0xf bank_mask:0xf// 000000006EA0: 7E2002FA FF00B140
	v_perm_b32 v56, v16, v64, v15                              // 000000006EA8: D1ED0038 043E8110
	buffer_atomic_add_f32 v148, v7, s[32:35], 0 offen offset:256// 000000006EB0: E1341100 80089407
	v_mfma_f32_16x16x16_bf16 v[188:191], v[118:119], v[156:157], v[188:191]// 000000006EB8: D3E100BC 06F33976
	v_mov_b32_dpp v16, v65 quad_perm:[1,0,3,2] row_mask:0xf bank_mask:0xf// 000000006EC0: 7E2002FA FF00B141
	v_perm_b32 v57, v16, v65, v15                              // 000000006EC8: D1ED0039 043E8310
	buffer_atomic_add_f32 v149, v8, s[32:35], 0 offen offset:256// 000000006ED0: E1341100 80089508
	v_mfma_f32_16x16x16_bf16 v[192:195], v[120:121], v[156:157], v[192:195]// 000000006ED8: D3E100C0 07033978
	ds_write_b32 v13, v68 offset:6528                          // 000000006EE0: D81A1980 0000440D
	ds_write_b32 v13, v69 offset:7584                          // 000000006EE8: D81A1DA0 0000450D
	v_mfma_f32_16x16x16_bf16 v[196:199], v[122:123], v[156:157], v[196:199]// 000000006EF0: D3E100C4 0713397A
	ds_write_b32 v18, v56 offset:26112                         // 000000006EF8: D81A6600 00003812
	ds_write_b32 v18, v57 offset:26656                         // 000000006F00: D81A6820 00003912
	v_mfma_f32_16x16x16_bf16 v[200:203], v[124:125], v[156:157], v[200:203]// 000000006F08: D3E100C8 0723397C
	ds_write_b32 v13, v70 offset:8704                          // 000000006F10: D81A2200 0000460D
	ds_write_b32 v13, v71 offset:9760                          // 000000006F18: D81A2620 0000470D
	v_mfma_f32_16x16x16_bf16 v[204:207], v[126:127], v[156:157], v[204:207]// 000000006F20: D3E100CC 0733397E
	ds_write_b32 v13, v72 offset:10880                         // 000000006F28: D81A2A80 0000480D
	ds_write_b32 v13, v73 offset:11936                         // 000000006F30: D81A2EA0 0000490D
	s_barrier                                                  // 000000006F38: BF8A0000
	v_mfma_f32_16x16x16_bf16 a[96:99], a[72:73], v[64:65], a[96:99]// 000000006F3C: D3E18060 0D828148
	ds_read_b32 v128, v21 offset:40704                         // 000000006F44: D86C9F00 80000015
	ds_read_b32 v158, v21 offset:40960                         // 000000006F4C: D86CA000 9E000015
	v_mfma_f32_16x16x16_bf16 a[100:103], a[74:75], v[64:65], a[100:103]// 000000006F54: D3E18064 0D92814A
	buffer_atomic_add_f32 v150, v7, s[32:35], 0 offen offset:384// 000000006F5C: E1341180 80089607
	buffer_atomic_add_f32 v151, v8, s[32:35], 0 offen offset:384// 000000006F64: E1341180 80089708
	v_mfma_f32_16x16x16_bf16 a[104:107], a[76:77], v[64:65], a[104:107]// 000000006F6C: D3E18068 0DA2814C
	s_waitcnt lgkmcnt(6)                                       // 000000006F74: BF8CC67F
	s_barrier                                                  // 000000006F78: BF8A0000
	v_mfma_f32_16x16x16_bf16 a[108:111], a[78:79], v[64:65], a[108:111]// 000000006F7C: D3E1806C 0DB2814E
	s_mov_b64 exec, s[92:93]                                   // 000000006F84: BEFE015C
	buffer_atomic_add_f32 v152, v7, s[32:35], 0 offen offset:512// 000000006F88: E1341200 80089807
	s_mov_b64 exec, s[86:87]                                   // 000000006F90: BEFE0156
	v_mfma_f32_16x16x16_bf16 a[112:115], a[80:81], v[64:65], a[112:115]// 000000006F94: D3E18070 0DC28150
	ds_read_b128 v[56:59], v17 offset:26112                    // 000000006F9C: D9FE6600 38000011
	v_mfma_f32_16x16x16_bf16 a[116:119], a[82:83], v[64:65], a[116:119]// 000000006FA4: D3E18074 0DD28152
	s_mov_b64 exec, s[92:93]                                   // 000000006FAC: BEFE015C
	buffer_atomic_add_f32 v153, v8, s[32:35], 0 offen offset:512// 000000006FB0: E1341200 80089908
	s_mov_b64 exec, s[86:87]                                   // 000000006FB8: BEFE0156
	v_mfma_f32_16x16x16_bf16 a[120:123], a[84:85], v[64:65], a[120:123]// 000000006FBC: D3E18078 0DE28154
	ds_read_b128 v[60:63], v17 offset:27264                    // 000000006FC4: D9FE6A80 3C000011
	v_mfma_f32_16x16x16_bf16 a[124:127], a[86:87], v[64:65], a[124:127]// 000000006FCC: D3E1807C 0DF28156
	s_mov_b64 exec, s[94:95]                                   // 000000006FD4: BEFE015E
	buffer_atomic_add_f32 v154, v7, s[32:35], 0 offen offset:640// 000000006FD8: E1341280 80089A07
	s_mov_b64 exec, s[86:87]                                   // 000000006FE0: BEFE0156
	v_mfma_f32_16x16x16_bf16 a[128:131], a[88:89], v[64:65], a[128:131]// 000000006FE4: D3E18080 0E028158
	ds_write_b32 v13, v74 offset:19584                         // 000000006FEC: D81A4C80 00004A0D
	ds_write_b32 v13, v75 offset:20640                         // 000000006FF4: D81A50A0 00004B0D
	v_mfma_f32_16x16x16_bf16 a[132:135], a[90:91], v[64:65], a[132:135]// 000000006FFC: D3E18084 0E12815A
	s_mov_b64 exec, s[94:95]                                   // 000000007004: BEFE015E
	buffer_atomic_add_f32 v155, v8, s[32:35], 0 offen offset:640// 000000007008: E1341280 80089B08
	s_mov_b64 exec, s[86:87]                                   // 000000007010: BEFE0156
	v_mfma_f32_16x16x16_bf16 a[136:139], a[92:93], v[64:65], a[136:139]// 000000007014: D3E18088 0E22815C
	ds_write_b32 v13, v76 offset:21760                         // 00000000701C: D81A5500 00004C0D
	ds_write_b32 v13, v77 offset:22816                         // 000000007024: D81A5920 00004D0D
	v_mfma_f32_16x16x16_bf16 a[140:143], a[94:95], v[64:65], a[140:143]// 00000000702C: D3E1808C 0E32815E
	ds_write_b32 v13, v78 offset:23936                         // 000000007034: D81A5D80 00004E0D
	ds_write_b32 v13, v79 offset:24992                         // 00000000703C: D81A61A0 00004F0D
	s_waitcnt vmcnt(12) lgkmcnt(6)                             // 000000007044: BF8C067C
	s_barrier                                                  // 000000007048: BF8A0000
	v_mfma_f32_16x16x16_bf16 v[132:135], v[56:57], a[24:25], 0 // 00000000704C: D3E10084 12023138
	ds_read_b128 a[72:75], v10                                 // 000000007054: DBFE0000 4800000A
	ds_read_b128 a[76:79], v10 offset:512                      // 00000000705C: DBFE0200 4C00000A
	ds_read_b128 a[80:83], v10 offset:2176                     // 000000007064: DBFE0880 5000000A
	buffer_load_dword v32, v1, s[8:11], 0 idxen                // 00000000706C: E0502000 80022001
	buffer_load_dword v33, v2, s[8:11], 0 idxen                // 000000007074: E0502000 80022102
	v_mfma_f32_16x16x16_bf16 v[132:135], v[58:59], a[30:31], v[132:135]// 00000000707C: D3E10084 16123D3A
	v_mul_f32_e32 v128, s48, v128                              // 000000007084: 0B010030
	v_perm_b32 v68, v39, v38, s63                              // 000000007088: D1ED0044 00FE4D27
	v_perm_b32 v69, v39, v38, s64                              // 000000007090: D1ED0045 01024D27
	v_perm_b32 v70, v41, v40, s63                              // 000000007098: D1ED0046 00FE5129
	v_mfma_f32_16x16x16_bf16 v[132:135], v[60:61], a[36:37], v[132:135]// 0000000070A0: D3E10084 1612493C
	ds_read_b128 a[84:87], v10 offset:2688                     // 0000000070A8: DBFE0A80 5400000A
	ds_read_b128 a[88:91], v10 offset:4352                     // 0000000070B0: DBFE1100 5800000A
	ds_read_b128 a[92:95], v10 offset:4864                     // 0000000070B8: DBFE1300 5C00000A
	buffer_load_dword v34, v1, s[8:11], 0 idxen offset:128     // 0000000070C0: E0502080 80022201
	buffer_load_dword v35, v2, s[8:11], 0 idxen offset:128     // 0000000070C8: E0502080 80022302
	v_mfma_f32_16x16x16_bf16 v[132:135], v[62:63], a[42:43], v[132:135]// 0000000070D0: D3E10084 1612553E
	v_perm_b32 v71, v41, v40, s64                              // 0000000070D8: D1ED0047 01025129
	v_perm_b32 v72, v43, v42, s63                              // 0000000070E0: D1ED0048 00FE552B
	v_perm_b32 v73, v43, v42, s64                              // 0000000070E8: D1ED0049 0102552B
	v_mfma_f32_16x16x16_bf16 v[136:139], v[56:57], a[26:27], 0 // 0000000070F0: D3E10088 12023538
	ds_read_b128 v[80:83], v10 offset:13056                    // 0000000070F8: D9FE3300 5000000A
	ds_read_b128 v[84:87], v10 offset:13568                    // 000000007100: D9FE3500 5400000A
	ds_read_b128 v[88:91], v10 offset:15232                    // 000000007108: D9FE3B80 5800000A
	buffer_load_dword v44, v212, s[20:23], 0 idxen             // 000000007110: E0502000 80052CD4
	buffer_load_dword v45, v213, s[20:23], 0 idxen             // 000000007118: E0502000 80052DD5
	v_mfma_f32_16x16x16_bf16 v[136:139], v[58:59], a[32:33], v[136:139]// 000000007120: D3E10088 1622413A
	v_perm_b32 v74, v51, v50, s63                              // 000000007128: D1ED004A 00FE6533
	v_perm_b32 v75, v51, v50, s64                              // 000000007130: D1ED004B 01026533
	v_perm_b32 v76, v53, v52, s63                              // 000000007138: D1ED004C 00FE6935
	v_mov_b32_dpp v131, v128 quad_perm:[3,3,3,3] row_mask:0xf bank_mask:0xf// 000000007140: 7F0602FA FF00FF80
	v_mov_b32_dpp v130, v128 quad_perm:[2,2,2,2] row_mask:0xf bank_mask:0xf// 000000007148: 7F0402FA FF00AA80
	v_mfma_f32_16x16x16_bf16 v[136:139], v[60:61], a[38:39], v[136:139]// 000000007150: D3E10088 16224D3C
	ds_read_b128 v[92:95], v10 offset:15744                    // 000000007158: D9FE3D80 5C00000A
	ds_read_b128 v[96:99], v10 offset:17408                    // 000000007160: D9FE4400 6000000A
	ds_read_b128 v[100:103], v10 offset:17920                  // 000000007168: D9FE4600 6400000A
	buffer_load_dword v46, v212, s[20:23], 0 idxen offset:128  // 000000007170: E0502080 80052ED4
	buffer_load_dword v47, v213, s[20:23], 0 idxen offset:128  // 000000007178: E0502080 80052FD5
	v_mfma_f32_16x16x16_bf16 v[136:139], v[62:63], a[44:45], v[136:139]// 000000007180: D3E10088 1622593E
	v_perm_b32 v77, v53, v52, s64                              // 000000007188: D1ED004D 01026935
	v_perm_b32 v78, v55, v54, s63                              // 000000007190: D1ED004E 00FE6D37
	v_perm_b32 v79, v55, v54, s64                              // 000000007198: D1ED004F 01026D37
	v_mov_b32_dpp v129, v128 quad_perm:[1,1,1,1] row_mask:0xf bank_mask:0xf// 0000000071A0: 7F0202FA FF005580
	v_mov_b32_dpp v128, v128 quad_perm:[0,0,0,0] row_mask:0xf bank_mask:0xf// 0000000071A8: 7F0002FA FF000080
	v_mfma_f32_16x16x16_bf16 v[140:143], v[56:57], a[28:29], 0 // 0000000071B0: D3E1008C 12023938
	buffer_load_dword v9, s[24:27], 0 idxen lds                // 0000000071B8: E0512000 80060009
	v_mov_b32_e32 v36, 0                                       // 0000000071C0: 7E480280
	s_mov_b64 exec, s[88:89]                                   // 0000000071C4: BEFE0158
	buffer_load_dword v36, v1, s[8:11], 0 idxen offset:256     // 0000000071C8: E0502100 80022401
	s_mov_b64 exec, s[86:87]                                   // 0000000071D0: BEFE0156
	v_mov_b32_e32 v37, 0                                       // 0000000071D4: 7E4A0280
	s_mov_b64 exec, s[88:89]                                   // 0000000071D8: BEFE0158
	buffer_load_dword v37, v2, s[8:11], 0 idxen offset:256     // 0000000071DC: E0502100 80022502
	s_mov_b64 exec, s[86:87]                                   // 0000000071E4: BEFE0156
	v_mfma_f32_16x16x16_bf16 v[140:143], v[58:59], a[34:35], v[140:143]// 0000000071E8: D3E1008C 1632453A
	s_add_u32 s60, 64, s59                                     // 0000000071F0: 803C3BC0
	s_cmp_lt_u32 s60, s58                                      // 0000000071F4: BF0A3A3C
	s_cselect_b32 s68, s68, 0                                  // 0000000071F8: 85448044
	s_cselect_b32 s97, s97, 0                                  // 0000000071FC: 85618061
	s_cselect_b32 s69, s69, 0                                  // 000000007200: 85458045
	v_mfma_f32_16x16x16_bf16 v[140:143], v[60:61], a[40:41], v[140:143]// 000000007204: D3E1008C 1632513C
	v_mov_b32_e32 v48, 0                                       // 00000000720C: 7E600280
	s_mov_b64 exec, s[88:89]                                   // 000000007210: BEFE0158
	buffer_load_dword v48, v212, s[20:23], 0 idxen offset:256  // 000000007214: E0502100 800530D4
	s_mov_b64 exec, s[86:87]                                   // 00000000721C: BEFE0156
	v_mov_b32_e32 v49, 0                                       // 000000007220: 7E620280
	s_mov_b64 exec, s[88:89]                                   // 000000007224: BEFE0158
	buffer_load_dword v49, v213, s[20:23], 0 idxen offset:256  // 000000007228: E0502100 800531D5
	s_mov_b64 exec, s[86:87]                                   // 000000007230: BEFE0156
	v_add_u32_e32 v1, s68, v1                                  // 000000007234: 68020244
	v_add_u32_e32 v2, s68, v2                                  // 000000007238: 68040444
	v_add_u32_e32 v212, s97, v212                              // 00000000723C: 69A9A861
	v_add_u32_e32 v213, s97, v213                              // 000000007240: 69ABAA61
	s_mov_b32 m0, s77                                          // 000000007244: BEFC004D
	v_add_u32_e32 v9, s69, v9                                  // 000000007248: 68121245
	v_mfma_f32_16x16x16_bf16 v[140:143], v[62:63], a[46:47], v[140:143]// 00000000724C: D3E1008C 16325D3E
	s_cmp_ge_u32 s59, 16                                       // 000000007254: BF09903B
	s_cselect_b32 s66, s67, s66                                // 000000007258: 85424243
	s_addk_i32 s59, 0x10                                       // 00000000725C: B73B0010
	s_nop 0                                                    // 000000007260: BF800000
	s_cmp_lt_i32 s59, s58                                      // 000000007264: BF043A3B
	s_cbranch_scc0 label_098C                                  // 000000007268: BF84FC71
	s_branch label_098F                                        // 00000000726C: BF82FC73

0000000000007270 <label_0D1C>:
	v_add_u32_e32 v7, s66, v7                                  // 000000007270: 680E0E42
	v_add_u32_e32 v8, s66, v8                                  // 000000007274: 68101042
	v_lshrrev_b32_e32 v28, 5, v0                               // 000000007278: 20380085
	v_mul_i32_i24_e32 v25, 0x44, v28                           // 00000000727C: 0C3238FF 00000044
	v_and_b32_e32 v28, 31, v0                                  // 000000007284: 2638009F
	v_mul_i32_i24_e32 v29, 2, v28                              // 000000007288: 0C3A3882
	v_add_u32_e32 v25, v29, v25                                // 00000000728C: 6832331D
	s_mul_i32 s60, s46, 0x660                                  // 000000007290: 923CFF2E 00000660
	v_add_u32_e32 v25, s60, v25                                // 000000007298: 6832323C
	v_lshlrev_b32_e32 v25, 2, v25                              // 00000000729C: 24323282
	v_mul_f32_e32 v132, s47, v132                              // 0000000072A0: 0B09082F
	v_mul_f32_e32 v133, s47, v133                              // 0000000072A4: 0B0B0A2F
	v_mul_f32_e32 v134, s47, v134                              // 0000000072A8: 0B0D0C2F
	v_mul_f32_e32 v135, s47, v135                              // 0000000072AC: 0B0F0E2F
	v_mul_f32_e32 v136, s47, v136                              // 0000000072B0: 0B11102F
	v_mul_f32_e32 v137, s47, v137                              // 0000000072B4: 0B13122F
	v_mul_f32_e32 v138, s47, v138                              // 0000000072B8: 0B15142F
	v_mul_f32_e32 v139, s47, v139                              // 0000000072BC: 0B17162F
	v_mul_f32_e32 v140, s47, v140                              // 0000000072C0: 0B19182F
	v_mul_f32_e32 v141, s47, v141                              // 0000000072C4: 0B1B1A2F
	v_mul_f32_e32 v142, s47, v142                              // 0000000072C8: 0B1D1C2F
	v_mul_f32_e32 v143, s47, v143                              // 0000000072CC: 0B1F1E2F
	ds_write_b64 v20, v[132:133] offset:28416                  // 0000000072D0: D89A6F00 00008414
	ds_write_b64 v20, v[134:135] offset:28928                  // 0000000072D8: D89A7100 00008614
	ds_write_b64 v20, v[136:137] offset:29440                  // 0000000072E0: D89A7300 00008814
	ds_write_b64 v20, v[138:139] offset:29952                  // 0000000072E8: D89A7500 00008A14
	ds_write_b64 v20, v[140:141] offset:30464                  // 0000000072F0: D89A7700 00008C14
	ds_write_b64 v20, v[142:143] offset:30976                  // 0000000072F8: D89A7900 00008E14
	s_waitcnt lgkmcnt(0)                                       // 000000007300: BF8CC07F
	s_barrier                                                  // 000000007304: BF8A0000
	ds_read_b64 v[144:145], v19 offset:28416                   // 000000007308: D8EC6F00 90000013
	ds_read_b64 v[146:147], v19 offset:30464                   // 000000007310: D8EC7700 92000013
	ds_read_b64 v[148:149], v19 offset:32512                   // 000000007318: D8EC7F00 94000013
	ds_read_b64 v[150:151], v19 offset:34560                   // 000000007320: D8EC8700 96000013
	ds_read_b64 v[152:153], v19 offset:36608                   // 000000007328: D8EC8F00 98000013
	ds_read_b64 v[154:155], v19 offset:38656                   // 000000007330: D8EC9700 9A000013
	s_waitcnt lgkmcnt(0)                                       // 000000007338: BF8CC07F
	s_barrier                                                  // 00000000733C: BF8A0000
	buffer_atomic_add_f32 v144, v7, s[32:35], 0 offen          // 000000007340: E1341000 80089007
	buffer_atomic_add_f32 v145, v8, s[32:35], 0 offen          // 000000007348: E1341000 80089108
	buffer_atomic_add_f32 v146, v7, s[32:35], 0 offen offset:128// 000000007350: E1341080 80089207
	buffer_atomic_add_f32 v147, v8, s[32:35], 0 offen offset:128// 000000007358: E1341080 80089308
	buffer_atomic_add_f32 v148, v7, s[32:35], 0 offen offset:256// 000000007360: E1341100 80089407
	buffer_atomic_add_f32 v149, v8, s[32:35], 0 offen offset:256// 000000007368: E1341100 80089508
	buffer_atomic_add_f32 v150, v7, s[32:35], 0 offen offset:384// 000000007370: E1341180 80089607
	buffer_atomic_add_f32 v151, v8, s[32:35], 0 offen offset:384// 000000007378: E1341180 80089708
	s_mov_b64 exec, s[92:93]                                   // 000000007380: BEFE015C
	buffer_atomic_add_f32 v152, v7, s[32:35], 0 offen offset:512// 000000007384: E1341200 80089807
	s_mov_b64 exec, s[86:87]                                   // 00000000738C: BEFE0156
	s_mov_b64 exec, s[92:93]                                   // 000000007390: BEFE015C
	buffer_atomic_add_f32 v153, v8, s[32:35], 0 offen offset:512// 000000007394: E1341200 80089908
	s_mov_b64 exec, s[86:87]                                   // 00000000739C: BEFE0156
	s_mov_b64 exec, s[94:95]                                   // 0000000073A0: BEFE015E
	buffer_atomic_add_f32 v154, v7, s[32:35], 0 offen offset:640// 0000000073A4: E1341280 80089A07
	s_mov_b64 exec, s[86:87]                                   // 0000000073AC: BEFE0156
	s_mov_b64 exec, s[94:95]                                   // 0000000073B0: BEFE015E
	buffer_atomic_add_f32 v155, v8, s[32:35], 0 offen offset:640// 0000000073B4: E1341280 80089B08
	s_mov_b64 exec, s[86:87]                                   // 0000000073BC: BEFE0156
	v_lshrrev_b32_e32 v28, 3, v0                               // 0000000073C0: 20380083
	v_mul_i32_i24_e32 v24, 2, v28                              // 0000000073C4: 0C303882
	v_and_b32_e32 v28, 7, v0                                   // 0000000073C8: 26380087
	v_mul_i32_i24_e32 v29, 0x44, v28                           // 0000000073CC: 0C3A38FF 00000044
	v_add_u32_e32 v24, v29, v24                                // 0000000073D4: 6830311D
	s_mul_i32 s60, s46, 0x660                                  // 0000000073D8: 923CFF2E 00000660
	v_add_u32_e32 v24, s60, v24                                // 0000000073E0: 6830303C
	v_lshlrev_b32_e32 v24, 2, v24                              // 0000000073E4: 24303082
	v_accvgpr_read_b32 v30, a96                                // 0000000073E8: D3D8401E 18000160
	v_accvgpr_read_b32 v31, a97                                // 0000000073F0: D3D8401F 18000161
	v_mul_f32_e32 v30, s47, v30                                // 0000000073F8: 0A3C3C2F
	v_mul_f32_e32 v31, s47, v31                                // 0000000073FC: 0A3E3E2F
	v_cmp_u_f32_e64 s[74:75], v30, v30                         // 000000007400: D048004A 00023D1E
	v_bfe_u32 v208, v30, 16, 1                                 // 000000007408: D1C800D0 0205211E
	v_add3_u32 v208, v30, v208, v211                           // 000000007410: D1FF00D0 074FA11E
	v_cndmask_b32_e64 v28, v208, v210, s[74:75]                // 000000007418: D100001C 012BA5D0
	v_lshrrev_b32_e32 v28, 16, v28                             // 000000007420: 20383890
	v_cmp_u_f32_e64 s[74:75], v31, v31                         // 000000007424: D048004A 00023F1F
	v_bfe_u32 v208, v31, 16, 1                                 // 00000000742C: D1C800D0 0205211F
	v_add3_u32 v208, v31, v208, v211                           // 000000007434: D1FF00D0 074FA11F
	v_cndmask_b32_e64 v29, v208, v210, s[74:75]                // 00000000743C: D100001D 012BA5D0
	v_and_or_b32 v56, v29, v209, v28                           // 000000007444: D2010038 0473A31D
	v_accvgpr_read_b32 v30, a98                                // 00000000744C: D3D8401E 18000162
	v_accvgpr_read_b32 v31, a99                                // 000000007454: D3D8401F 18000163
	v_mul_f32_e32 v30, s47, v30                                // 00000000745C: 0A3C3C2F
	v_mul_f32_e32 v31, s47, v31                                // 000000007460: 0A3E3E2F
	v_cmp_u_f32_e64 s[74:75], v30, v30                         // 000000007464: D048004A 00023D1E
	v_bfe_u32 v208, v30, 16, 1                                 // 00000000746C: D1C800D0 0205211E
	v_add3_u32 v208, v30, v208, v211                           // 000000007474: D1FF00D0 074FA11E
	v_cndmask_b32_e64 v28, v208, v210, s[74:75]                // 00000000747C: D100001C 012BA5D0
	v_lshrrev_b32_e32 v28, 16, v28                             // 000000007484: 20383890
	v_cmp_u_f32_e64 s[74:75], v31, v31                         // 000000007488: D048004A 00023F1F
	v_bfe_u32 v208, v31, 16, 1                                 // 000000007490: D1C800D0 0205211F
	v_add3_u32 v208, v31, v208, v211                           // 000000007498: D1FF00D0 074FA11F
	v_cndmask_b32_e64 v29, v208, v210, s[74:75]                // 0000000074A0: D100001D 012BA5D0
	v_and_or_b32 v57, v29, v209, v28                           // 0000000074A8: D2010039 0473A31D
	v_accvgpr_read_b32 v30, a100                               // 0000000074B0: D3D8401E 18000164
	v_accvgpr_read_b32 v31, a101                               // 0000000074B8: D3D8401F 18000165
	v_mul_f32_e32 v30, s47, v30                                // 0000000074C0: 0A3C3C2F
	v_mul_f32_e32 v31, s47, v31                                // 0000000074C4: 0A3E3E2F
	v_cmp_u_f32_e64 s[74:75], v30, v30                         // 0000000074C8: D048004A 00023D1E
	v_bfe_u32 v208, v30, 16, 1                                 // 0000000074D0: D1C800D0 0205211E
	v_add3_u32 v208, v30, v208, v211                           // 0000000074D8: D1FF00D0 074FA11E
	v_cndmask_b32_e64 v28, v208, v210, s[74:75]                // 0000000074E0: D100001C 012BA5D0
	v_lshrrev_b32_e32 v28, 16, v28                             // 0000000074E8: 20383890
	v_cmp_u_f32_e64 s[74:75], v31, v31                         // 0000000074EC: D048004A 00023F1F
	v_bfe_u32 v208, v31, 16, 1                                 // 0000000074F4: D1C800D0 0205211F
	v_add3_u32 v208, v31, v208, v211                           // 0000000074FC: D1FF00D0 074FA11F
	v_cndmask_b32_e64 v29, v208, v210, s[74:75]                // 000000007504: D100001D 012BA5D0
	v_and_or_b32 v58, v29, v209, v28                           // 00000000750C: D201003A 0473A31D
	v_accvgpr_read_b32 v30, a102                               // 000000007514: D3D8401E 18000166
	v_accvgpr_read_b32 v31, a103                               // 00000000751C: D3D8401F 18000167
	v_mul_f32_e32 v30, s47, v30                                // 000000007524: 0A3C3C2F
	v_mul_f32_e32 v31, s47, v31                                // 000000007528: 0A3E3E2F
	v_cmp_u_f32_e64 s[74:75], v30, v30                         // 00000000752C: D048004A 00023D1E
	v_bfe_u32 v208, v30, 16, 1                                 // 000000007534: D1C800D0 0205211E
	v_add3_u32 v208, v30, v208, v211                           // 00000000753C: D1FF00D0 074FA11E
	v_cndmask_b32_e64 v28, v208, v210, s[74:75]                // 000000007544: D100001C 012BA5D0
	v_lshrrev_b32_e32 v28, 16, v28                             // 00000000754C: 20383890
	v_cmp_u_f32_e64 s[74:75], v31, v31                         // 000000007550: D048004A 00023F1F
	v_bfe_u32 v208, v31, 16, 1                                 // 000000007558: D1C800D0 0205211F
	v_add3_u32 v208, v31, v208, v211                           // 000000007560: D1FF00D0 074FA11F
	v_cndmask_b32_e64 v29, v208, v210, s[74:75]                // 000000007568: D100001D 012BA5D0
	v_and_or_b32 v59, v29, v209, v28                           // 000000007570: D201003B 0473A31D
	v_accvgpr_read_b32 v30, a104                               // 000000007578: D3D8401E 18000168
	v_accvgpr_read_b32 v31, a105                               // 000000007580: D3D8401F 18000169
	v_mul_f32_e32 v30, s47, v30                                // 000000007588: 0A3C3C2F
	v_mul_f32_e32 v31, s47, v31                                // 00000000758C: 0A3E3E2F
	v_cmp_u_f32_e64 s[74:75], v30, v30                         // 000000007590: D048004A 00023D1E
	v_bfe_u32 v208, v30, 16, 1                                 // 000000007598: D1C800D0 0205211E
	v_add3_u32 v208, v30, v208, v211                           // 0000000075A0: D1FF00D0 074FA11E
	v_cndmask_b32_e64 v28, v208, v210, s[74:75]                // 0000000075A8: D100001C 012BA5D0
	v_lshrrev_b32_e32 v28, 16, v28                             // 0000000075B0: 20383890
	v_cmp_u_f32_e64 s[74:75], v31, v31                         // 0000000075B4: D048004A 00023F1F
	v_bfe_u32 v208, v31, 16, 1                                 // 0000000075BC: D1C800D0 0205211F
	v_add3_u32 v208, v31, v208, v211                           // 0000000075C4: D1FF00D0 074FA11F
	v_cndmask_b32_e64 v29, v208, v210, s[74:75]                // 0000000075CC: D100001D 012BA5D0
	v_and_or_b32 v60, v29, v209, v28                           // 0000000075D4: D201003C 0473A31D
	v_accvgpr_read_b32 v30, a106                               // 0000000075DC: D3D8401E 1800016A
	v_accvgpr_read_b32 v31, a107                               // 0000000075E4: D3D8401F 1800016B
	v_mul_f32_e32 v30, s47, v30                                // 0000000075EC: 0A3C3C2F
	v_mul_f32_e32 v31, s47, v31                                // 0000000075F0: 0A3E3E2F
	v_cmp_u_f32_e64 s[74:75], v30, v30                         // 0000000075F4: D048004A 00023D1E
	v_bfe_u32 v208, v30, 16, 1                                 // 0000000075FC: D1C800D0 0205211E
	v_add3_u32 v208, v30, v208, v211                           // 000000007604: D1FF00D0 074FA11E
	v_cndmask_b32_e64 v28, v208, v210, s[74:75]                // 00000000760C: D100001C 012BA5D0
	v_lshrrev_b32_e32 v28, 16, v28                             // 000000007614: 20383890
	v_cmp_u_f32_e64 s[74:75], v31, v31                         // 000000007618: D048004A 00023F1F
	v_bfe_u32 v208, v31, 16, 1                                 // 000000007620: D1C800D0 0205211F
	v_add3_u32 v208, v31, v208, v211                           // 000000007628: D1FF00D0 074FA11F
	v_cndmask_b32_e64 v29, v208, v210, s[74:75]                // 000000007630: D100001D 012BA5D0
	v_and_or_b32 v61, v29, v209, v28                           // 000000007638: D201003D 0473A31D
	v_accvgpr_read_b32 v30, a108                               // 000000007640: D3D8401E 1800016C
	v_accvgpr_read_b32 v31, a109                               // 000000007648: D3D8401F 1800016D
	v_mul_f32_e32 v30, s47, v30                                // 000000007650: 0A3C3C2F
	v_mul_f32_e32 v31, s47, v31                                // 000000007654: 0A3E3E2F
	v_cmp_u_f32_e64 s[74:75], v30, v30                         // 000000007658: D048004A 00023D1E
	v_bfe_u32 v208, v30, 16, 1                                 // 000000007660: D1C800D0 0205211E
	v_add3_u32 v208, v30, v208, v211                           // 000000007668: D1FF00D0 074FA11E
	v_cndmask_b32_e64 v28, v208, v210, s[74:75]                // 000000007670: D100001C 012BA5D0
	v_lshrrev_b32_e32 v28, 16, v28                             // 000000007678: 20383890
	v_cmp_u_f32_e64 s[74:75], v31, v31                         // 00000000767C: D048004A 00023F1F
	v_bfe_u32 v208, v31, 16, 1                                 // 000000007684: D1C800D0 0205211F
	v_add3_u32 v208, v31, v208, v211                           // 00000000768C: D1FF00D0 074FA11F
	v_cndmask_b32_e64 v29, v208, v210, s[74:75]                // 000000007694: D100001D 012BA5D0
	v_and_or_b32 v62, v29, v209, v28                           // 00000000769C: D201003E 0473A31D
	v_accvgpr_read_b32 v30, a110                               // 0000000076A4: D3D8401E 1800016E
	v_accvgpr_read_b32 v31, a111                               // 0000000076AC: D3D8401F 1800016F
	v_mul_f32_e32 v30, s47, v30                                // 0000000076B4: 0A3C3C2F
	v_mul_f32_e32 v31, s47, v31                                // 0000000076B8: 0A3E3E2F
	v_cmp_u_f32_e64 s[74:75], v30, v30                         // 0000000076BC: D048004A 00023D1E
	v_bfe_u32 v208, v30, 16, 1                                 // 0000000076C4: D1C800D0 0205211E
	v_add3_u32 v208, v30, v208, v211                           // 0000000076CC: D1FF00D0 074FA11E
	v_cndmask_b32_e64 v28, v208, v210, s[74:75]                // 0000000076D4: D100001C 012BA5D0
	v_lshrrev_b32_e32 v28, 16, v28                             // 0000000076DC: 20383890
	v_cmp_u_f32_e64 s[74:75], v31, v31                         // 0000000076E0: D048004A 00023F1F
	v_bfe_u32 v208, v31, 16, 1                                 // 0000000076E8: D1C800D0 0205211F
	v_add3_u32 v208, v31, v208, v211                           // 0000000076F0: D1FF00D0 074FA11F
	v_cndmask_b32_e64 v29, v208, v210, s[74:75]                // 0000000076F8: D100001D 012BA5D0
	v_and_or_b32 v63, v29, v209, v28                           // 000000007700: D201003F 0473A31D
	v_accvgpr_read_b32 v30, a112                               // 000000007708: D3D8401E 18000170
	v_accvgpr_read_b32 v31, a113                               // 000000007710: D3D8401F 18000171
	v_mul_f32_e32 v30, s47, v30                                // 000000007718: 0A3C3C2F
	v_mul_f32_e32 v31, s47, v31                                // 00000000771C: 0A3E3E2F
	v_cmp_u_f32_e64 s[74:75], v30, v30                         // 000000007720: D048004A 00023D1E
	v_bfe_u32 v208, v30, 16, 1                                 // 000000007728: D1C800D0 0205211E
	v_add3_u32 v208, v30, v208, v211                           // 000000007730: D1FF00D0 074FA11E
	v_cndmask_b32_e64 v28, v208, v210, s[74:75]                // 000000007738: D100001C 012BA5D0
	v_lshrrev_b32_e32 v28, 16, v28                             // 000000007740: 20383890
	v_cmp_u_f32_e64 s[74:75], v31, v31                         // 000000007744: D048004A 00023F1F
	v_bfe_u32 v208, v31, 16, 1                                 // 00000000774C: D1C800D0 0205211F
	v_add3_u32 v208, v31, v208, v211                           // 000000007754: D1FF00D0 074FA11F
	v_cndmask_b32_e64 v29, v208, v210, s[74:75]                // 00000000775C: D100001D 012BA5D0
	v_and_or_b32 v64, v29, v209, v28                           // 000000007764: D2010040 0473A31D
	v_accvgpr_read_b32 v30, a114                               // 00000000776C: D3D8401E 18000172
	v_accvgpr_read_b32 v31, a115                               // 000000007774: D3D8401F 18000173
	v_mul_f32_e32 v30, s47, v30                                // 00000000777C: 0A3C3C2F
	v_mul_f32_e32 v31, s47, v31                                // 000000007780: 0A3E3E2F
	v_cmp_u_f32_e64 s[74:75], v30, v30                         // 000000007784: D048004A 00023D1E
	v_bfe_u32 v208, v30, 16, 1                                 // 00000000778C: D1C800D0 0205211E
	v_add3_u32 v208, v30, v208, v211                           // 000000007794: D1FF00D0 074FA11E
	v_cndmask_b32_e64 v28, v208, v210, s[74:75]                // 00000000779C: D100001C 012BA5D0
	v_lshrrev_b32_e32 v28, 16, v28                             // 0000000077A4: 20383890
	v_cmp_u_f32_e64 s[74:75], v31, v31                         // 0000000077A8: D048004A 00023F1F
	v_bfe_u32 v208, v31, 16, 1                                 // 0000000077B0: D1C800D0 0205211F
	v_add3_u32 v208, v31, v208, v211                           // 0000000077B8: D1FF00D0 074FA11F
	v_cndmask_b32_e64 v29, v208, v210, s[74:75]                // 0000000077C0: D100001D 012BA5D0
	v_and_or_b32 v65, v29, v209, v28                           // 0000000077C8: D2010041 0473A31D
	v_accvgpr_read_b32 v30, a116                               // 0000000077D0: D3D8401E 18000174
	v_accvgpr_read_b32 v31, a117                               // 0000000077D8: D3D8401F 18000175
	v_mul_f32_e32 v30, s47, v30                                // 0000000077E0: 0A3C3C2F
	v_mul_f32_e32 v31, s47, v31                                // 0000000077E4: 0A3E3E2F
	v_cmp_u_f32_e64 s[74:75], v30, v30                         // 0000000077E8: D048004A 00023D1E
	v_bfe_u32 v208, v30, 16, 1                                 // 0000000077F0: D1C800D0 0205211E
	v_add3_u32 v208, v30, v208, v211                           // 0000000077F8: D1FF00D0 074FA11E
	v_cndmask_b32_e64 v28, v208, v210, s[74:75]                // 000000007800: D100001C 012BA5D0
	v_lshrrev_b32_e32 v28, 16, v28                             // 000000007808: 20383890
	v_cmp_u_f32_e64 s[74:75], v31, v31                         // 00000000780C: D048004A 00023F1F
	v_bfe_u32 v208, v31, 16, 1                                 // 000000007814: D1C800D0 0205211F
	v_add3_u32 v208, v31, v208, v211                           // 00000000781C: D1FF00D0 074FA11F
	v_cndmask_b32_e64 v29, v208, v210, s[74:75]                // 000000007824: D100001D 012BA5D0
	v_and_or_b32 v66, v29, v209, v28                           // 00000000782C: D2010042 0473A31D
	v_accvgpr_read_b32 v30, a118                               // 000000007834: D3D8401E 18000176
	v_accvgpr_read_b32 v31, a119                               // 00000000783C: D3D8401F 18000177
	v_mul_f32_e32 v30, s47, v30                                // 000000007844: 0A3C3C2F
	v_mul_f32_e32 v31, s47, v31                                // 000000007848: 0A3E3E2F
	v_cmp_u_f32_e64 s[74:75], v30, v30                         // 00000000784C: D048004A 00023D1E
	v_bfe_u32 v208, v30, 16, 1                                 // 000000007854: D1C800D0 0205211E
	v_add3_u32 v208, v30, v208, v211                           // 00000000785C: D1FF00D0 074FA11E
	v_cndmask_b32_e64 v28, v208, v210, s[74:75]                // 000000007864: D100001C 012BA5D0
	v_lshrrev_b32_e32 v28, 16, v28                             // 00000000786C: 20383890
	v_cmp_u_f32_e64 s[74:75], v31, v31                         // 000000007870: D048004A 00023F1F
	v_bfe_u32 v208, v31, 16, 1                                 // 000000007878: D1C800D0 0205211F
	v_add3_u32 v208, v31, v208, v211                           // 000000007880: D1FF00D0 074FA11F
	v_cndmask_b32_e64 v29, v208, v210, s[74:75]                // 000000007888: D100001D 012BA5D0
	v_and_or_b32 v67, v29, v209, v28                           // 000000007890: D2010043 0473A31D
	v_accvgpr_read_b32 v30, a120                               // 000000007898: D3D8401E 18000178
	v_accvgpr_read_b32 v31, a121                               // 0000000078A0: D3D8401F 18000179
	v_mul_f32_e32 v30, s47, v30                                // 0000000078A8: 0A3C3C2F
	v_mul_f32_e32 v31, s47, v31                                // 0000000078AC: 0A3E3E2F
	v_cmp_u_f32_e64 s[74:75], v30, v30                         // 0000000078B0: D048004A 00023D1E
	v_bfe_u32 v208, v30, 16, 1                                 // 0000000078B8: D1C800D0 0205211E
	v_add3_u32 v208, v30, v208, v211                           // 0000000078C0: D1FF00D0 074FA11E
	v_cndmask_b32_e64 v28, v208, v210, s[74:75]                // 0000000078C8: D100001C 012BA5D0
	v_lshrrev_b32_e32 v28, 16, v28                             // 0000000078D0: 20383890
	v_cmp_u_f32_e64 s[74:75], v31, v31                         // 0000000078D4: D048004A 00023F1F
	v_bfe_u32 v208, v31, 16, 1                                 // 0000000078DC: D1C800D0 0205211F
	v_add3_u32 v208, v31, v208, v211                           // 0000000078E4: D1FF00D0 074FA11F
	v_cndmask_b32_e64 v29, v208, v210, s[74:75]                // 0000000078EC: D100001D 012BA5D0
	v_and_or_b32 v68, v29, v209, v28                           // 0000000078F4: D2010044 0473A31D
	v_accvgpr_read_b32 v30, a122                               // 0000000078FC: D3D8401E 1800017A
	v_accvgpr_read_b32 v31, a123                               // 000000007904: D3D8401F 1800017B
	v_mul_f32_e32 v30, s47, v30                                // 00000000790C: 0A3C3C2F
	v_mul_f32_e32 v31, s47, v31                                // 000000007910: 0A3E3E2F
	v_cmp_u_f32_e64 s[74:75], v30, v30                         // 000000007914: D048004A 00023D1E
	v_bfe_u32 v208, v30, 16, 1                                 // 00000000791C: D1C800D0 0205211E
	v_add3_u32 v208, v30, v208, v211                           // 000000007924: D1FF00D0 074FA11E
	v_cndmask_b32_e64 v28, v208, v210, s[74:75]                // 00000000792C: D100001C 012BA5D0
	v_lshrrev_b32_e32 v28, 16, v28                             // 000000007934: 20383890
	v_cmp_u_f32_e64 s[74:75], v31, v31                         // 000000007938: D048004A 00023F1F
	v_bfe_u32 v208, v31, 16, 1                                 // 000000007940: D1C800D0 0205211F
	v_add3_u32 v208, v31, v208, v211                           // 000000007948: D1FF00D0 074FA11F
	v_cndmask_b32_e64 v29, v208, v210, s[74:75]                // 000000007950: D100001D 012BA5D0
	v_and_or_b32 v69, v29, v209, v28                           // 000000007958: D2010045 0473A31D
	v_accvgpr_read_b32 v30, a124                               // 000000007960: D3D8401E 1800017C
	v_accvgpr_read_b32 v31, a125                               // 000000007968: D3D8401F 1800017D
	v_mul_f32_e32 v30, s47, v30                                // 000000007970: 0A3C3C2F
	v_mul_f32_e32 v31, s47, v31                                // 000000007974: 0A3E3E2F
	v_cmp_u_f32_e64 s[74:75], v30, v30                         // 000000007978: D048004A 00023D1E
	v_bfe_u32 v208, v30, 16, 1                                 // 000000007980: D1C800D0 0205211E
	v_add3_u32 v208, v30, v208, v211                           // 000000007988: D1FF00D0 074FA11E
	v_cndmask_b32_e64 v28, v208, v210, s[74:75]                // 000000007990: D100001C 012BA5D0
	v_lshrrev_b32_e32 v28, 16, v28                             // 000000007998: 20383890
	v_cmp_u_f32_e64 s[74:75], v31, v31                         // 00000000799C: D048004A 00023F1F
	v_bfe_u32 v208, v31, 16, 1                                 // 0000000079A4: D1C800D0 0205211F
	v_add3_u32 v208, v31, v208, v211                           // 0000000079AC: D1FF00D0 074FA11F
	v_cndmask_b32_e64 v29, v208, v210, s[74:75]                // 0000000079B4: D100001D 012BA5D0
	v_and_or_b32 v70, v29, v209, v28                           // 0000000079BC: D2010046 0473A31D
	v_accvgpr_read_b32 v30, a126                               // 0000000079C4: D3D8401E 1800017E
	v_accvgpr_read_b32 v31, a127                               // 0000000079CC: D3D8401F 1800017F
	v_mul_f32_e32 v30, s47, v30                                // 0000000079D4: 0A3C3C2F
	v_mul_f32_e32 v31, s47, v31                                // 0000000079D8: 0A3E3E2F
	v_cmp_u_f32_e64 s[74:75], v30, v30                         // 0000000079DC: D048004A 00023D1E
	v_bfe_u32 v208, v30, 16, 1                                 // 0000000079E4: D1C800D0 0205211E
	v_add3_u32 v208, v30, v208, v211                           // 0000000079EC: D1FF00D0 074FA11E
	v_cndmask_b32_e64 v28, v208, v210, s[74:75]                // 0000000079F4: D100001C 012BA5D0
	v_lshrrev_b32_e32 v28, 16, v28                             // 0000000079FC: 20383890
	v_cmp_u_f32_e64 s[74:75], v31, v31                         // 000000007A00: D048004A 00023F1F
	v_bfe_u32 v208, v31, 16, 1                                 // 000000007A08: D1C800D0 0205211F
	v_add3_u32 v208, v31, v208, v211                           // 000000007A10: D1FF00D0 074FA11F
	v_cndmask_b32_e64 v29, v208, v210, s[74:75]                // 000000007A18: D100001D 012BA5D0
	v_and_or_b32 v71, v29, v209, v28                           // 000000007A20: D2010047 0473A31D
	v_accvgpr_read_b32 v30, a128                               // 000000007A28: D3D8401E 18000180
	v_accvgpr_read_b32 v31, a129                               // 000000007A30: D3D8401F 18000181
	v_mul_f32_e32 v30, s47, v30                                // 000000007A38: 0A3C3C2F
	v_mul_f32_e32 v31, s47, v31                                // 000000007A3C: 0A3E3E2F
	v_cmp_u_f32_e64 s[74:75], v30, v30                         // 000000007A40: D048004A 00023D1E
	v_bfe_u32 v208, v30, 16, 1                                 // 000000007A48: D1C800D0 0205211E
	v_add3_u32 v208, v30, v208, v211                           // 000000007A50: D1FF00D0 074FA11E
	v_cndmask_b32_e64 v28, v208, v210, s[74:75]                // 000000007A58: D100001C 012BA5D0
	v_lshrrev_b32_e32 v28, 16, v28                             // 000000007A60: 20383890
	v_cmp_u_f32_e64 s[74:75], v31, v31                         // 000000007A64: D048004A 00023F1F
	v_bfe_u32 v208, v31, 16, 1                                 // 000000007A6C: D1C800D0 0205211F
	v_add3_u32 v208, v31, v208, v211                           // 000000007A74: D1FF00D0 074FA11F
	v_cndmask_b32_e64 v29, v208, v210, s[74:75]                // 000000007A7C: D100001D 012BA5D0
	v_and_or_b32 v72, v29, v209, v28                           // 000000007A84: D2010048 0473A31D
	v_accvgpr_read_b32 v30, a130                               // 000000007A8C: D3D8401E 18000182
	v_accvgpr_read_b32 v31, a131                               // 000000007A94: D3D8401F 18000183
	v_mul_f32_e32 v30, s47, v30                                // 000000007A9C: 0A3C3C2F
	v_mul_f32_e32 v31, s47, v31                                // 000000007AA0: 0A3E3E2F
	v_cmp_u_f32_e64 s[74:75], v30, v30                         // 000000007AA4: D048004A 00023D1E
	v_bfe_u32 v208, v30, 16, 1                                 // 000000007AAC: D1C800D0 0205211E
	v_add3_u32 v208, v30, v208, v211                           // 000000007AB4: D1FF00D0 074FA11E
	v_cndmask_b32_e64 v28, v208, v210, s[74:75]                // 000000007ABC: D100001C 012BA5D0
	v_lshrrev_b32_e32 v28, 16, v28                             // 000000007AC4: 20383890
	v_cmp_u_f32_e64 s[74:75], v31, v31                         // 000000007AC8: D048004A 00023F1F
	v_bfe_u32 v208, v31, 16, 1                                 // 000000007AD0: D1C800D0 0205211F
	v_add3_u32 v208, v31, v208, v211                           // 000000007AD8: D1FF00D0 074FA11F
	v_cndmask_b32_e64 v29, v208, v210, s[74:75]                // 000000007AE0: D100001D 012BA5D0
	v_and_or_b32 v73, v29, v209, v28                           // 000000007AE8: D2010049 0473A31D
	v_accvgpr_read_b32 v30, a132                               // 000000007AF0: D3D8401E 18000184
	v_accvgpr_read_b32 v31, a133                               // 000000007AF8: D3D8401F 18000185
	v_mul_f32_e32 v30, s47, v30                                // 000000007B00: 0A3C3C2F
	v_mul_f32_e32 v31, s47, v31                                // 000000007B04: 0A3E3E2F
	v_cmp_u_f32_e64 s[74:75], v30, v30                         // 000000007B08: D048004A 00023D1E
	v_bfe_u32 v208, v30, 16, 1                                 // 000000007B10: D1C800D0 0205211E
	v_add3_u32 v208, v30, v208, v211                           // 000000007B18: D1FF00D0 074FA11E
	v_cndmask_b32_e64 v28, v208, v210, s[74:75]                // 000000007B20: D100001C 012BA5D0
	v_lshrrev_b32_e32 v28, 16, v28                             // 000000007B28: 20383890
	v_cmp_u_f32_e64 s[74:75], v31, v31                         // 000000007B2C: D048004A 00023F1F
	v_bfe_u32 v208, v31, 16, 1                                 // 000000007B34: D1C800D0 0205211F
	v_add3_u32 v208, v31, v208, v211                           // 000000007B3C: D1FF00D0 074FA11F
	v_cndmask_b32_e64 v29, v208, v210, s[74:75]                // 000000007B44: D100001D 012BA5D0
	v_and_or_b32 v74, v29, v209, v28                           // 000000007B4C: D201004A 0473A31D
	v_accvgpr_read_b32 v30, a134                               // 000000007B54: D3D8401E 18000186
	v_accvgpr_read_b32 v31, a135                               // 000000007B5C: D3D8401F 18000187
	v_mul_f32_e32 v30, s47, v30                                // 000000007B64: 0A3C3C2F
	v_mul_f32_e32 v31, s47, v31                                // 000000007B68: 0A3E3E2F
	v_cmp_u_f32_e64 s[74:75], v30, v30                         // 000000007B6C: D048004A 00023D1E
	v_bfe_u32 v208, v30, 16, 1                                 // 000000007B74: D1C800D0 0205211E
	v_add3_u32 v208, v30, v208, v211                           // 000000007B7C: D1FF00D0 074FA11E
	v_cndmask_b32_e64 v28, v208, v210, s[74:75]                // 000000007B84: D100001C 012BA5D0
	v_lshrrev_b32_e32 v28, 16, v28                             // 000000007B8C: 20383890
	v_cmp_u_f32_e64 s[74:75], v31, v31                         // 000000007B90: D048004A 00023F1F
	v_bfe_u32 v208, v31, 16, 1                                 // 000000007B98: D1C800D0 0205211F
	v_add3_u32 v208, v31, v208, v211                           // 000000007BA0: D1FF00D0 074FA11F
	v_cndmask_b32_e64 v29, v208, v210, s[74:75]                // 000000007BA8: D100001D 012BA5D0
	v_and_or_b32 v75, v29, v209, v28                           // 000000007BB0: D201004B 0473A31D
	v_accvgpr_read_b32 v30, a136                               // 000000007BB8: D3D8401E 18000188
	v_accvgpr_read_b32 v31, a137                               // 000000007BC0: D3D8401F 18000189
	v_mul_f32_e32 v30, s47, v30                                // 000000007BC8: 0A3C3C2F
	v_mul_f32_e32 v31, s47, v31                                // 000000007BCC: 0A3E3E2F
	v_cmp_u_f32_e64 s[74:75], v30, v30                         // 000000007BD0: D048004A 00023D1E
	v_bfe_u32 v208, v30, 16, 1                                 // 000000007BD8: D1C800D0 0205211E
	v_add3_u32 v208, v30, v208, v211                           // 000000007BE0: D1FF00D0 074FA11E
	v_cndmask_b32_e64 v28, v208, v210, s[74:75]                // 000000007BE8: D100001C 012BA5D0
	v_lshrrev_b32_e32 v28, 16, v28                             // 000000007BF0: 20383890
	v_cmp_u_f32_e64 s[74:75], v31, v31                         // 000000007BF4: D048004A 00023F1F
	v_bfe_u32 v208, v31, 16, 1                                 // 000000007BFC: D1C800D0 0205211F
	v_add3_u32 v208, v31, v208, v211                           // 000000007C04: D1FF00D0 074FA11F
	v_cndmask_b32_e64 v29, v208, v210, s[74:75]                // 000000007C0C: D100001D 012BA5D0
	v_and_or_b32 v76, v29, v209, v28                           // 000000007C14: D201004C 0473A31D
	v_accvgpr_read_b32 v30, a138                               // 000000007C1C: D3D8401E 1800018A
	v_accvgpr_read_b32 v31, a139                               // 000000007C24: D3D8401F 1800018B
	v_mul_f32_e32 v30, s47, v30                                // 000000007C2C: 0A3C3C2F
	v_mul_f32_e32 v31, s47, v31                                // 000000007C30: 0A3E3E2F
	v_cmp_u_f32_e64 s[74:75], v30, v30                         // 000000007C34: D048004A 00023D1E
	v_bfe_u32 v208, v30, 16, 1                                 // 000000007C3C: D1C800D0 0205211E
	v_add3_u32 v208, v30, v208, v211                           // 000000007C44: D1FF00D0 074FA11E
	v_cndmask_b32_e64 v28, v208, v210, s[74:75]                // 000000007C4C: D100001C 012BA5D0
	v_lshrrev_b32_e32 v28, 16, v28                             // 000000007C54: 20383890
	v_cmp_u_f32_e64 s[74:75], v31, v31                         // 000000007C58: D048004A 00023F1F
	v_bfe_u32 v208, v31, 16, 1                                 // 000000007C60: D1C800D0 0205211F
	v_add3_u32 v208, v31, v208, v211                           // 000000007C68: D1FF00D0 074FA11F
	v_cndmask_b32_e64 v29, v208, v210, s[74:75]                // 000000007C70: D100001D 012BA5D0
	v_and_or_b32 v77, v29, v209, v28                           // 000000007C78: D201004D 0473A31D
	v_accvgpr_read_b32 v30, a140                               // 000000007C80: D3D8401E 1800018C
	v_accvgpr_read_b32 v31, a141                               // 000000007C88: D3D8401F 1800018D
	v_mul_f32_e32 v30, s47, v30                                // 000000007C90: 0A3C3C2F
	v_mul_f32_e32 v31, s47, v31                                // 000000007C94: 0A3E3E2F
	v_cmp_u_f32_e64 s[74:75], v30, v30                         // 000000007C98: D048004A 00023D1E
	v_bfe_u32 v208, v30, 16, 1                                 // 000000007CA0: D1C800D0 0205211E
	v_add3_u32 v208, v30, v208, v211                           // 000000007CA8: D1FF00D0 074FA11E
	v_cndmask_b32_e64 v28, v208, v210, s[74:75]                // 000000007CB0: D100001C 012BA5D0
	v_lshrrev_b32_e32 v28, 16, v28                             // 000000007CB8: 20383890
	v_cmp_u_f32_e64 s[74:75], v31, v31                         // 000000007CBC: D048004A 00023F1F
	v_bfe_u32 v208, v31, 16, 1                                 // 000000007CC4: D1C800D0 0205211F
	v_add3_u32 v208, v31, v208, v211                           // 000000007CCC: D1FF00D0 074FA11F
	v_cndmask_b32_e64 v29, v208, v210, s[74:75]                // 000000007CD4: D100001D 012BA5D0
	v_and_or_b32 v78, v29, v209, v28                           // 000000007CDC: D201004E 0473A31D
	v_accvgpr_read_b32 v30, a142                               // 000000007CE4: D3D8401E 1800018E
	v_accvgpr_read_b32 v31, a143                               // 000000007CEC: D3D8401F 1800018F
	v_mul_f32_e32 v30, s47, v30                                // 000000007CF4: 0A3C3C2F
	v_mul_f32_e32 v31, s47, v31                                // 000000007CF8: 0A3E3E2F
	v_cmp_u_f32_e64 s[74:75], v30, v30                         // 000000007CFC: D048004A 00023D1E
	v_bfe_u32 v208, v30, 16, 1                                 // 000000007D04: D1C800D0 0205211E
	v_add3_u32 v208, v30, v208, v211                           // 000000007D0C: D1FF00D0 074FA11E
	v_cndmask_b32_e64 v28, v208, v210, s[74:75]                // 000000007D14: D100001C 012BA5D0
	v_lshrrev_b32_e32 v28, 16, v28                             // 000000007D1C: 20383890
	v_cmp_u_f32_e64 s[74:75], v31, v31                         // 000000007D20: D048004A 00023F1F
	v_bfe_u32 v208, v31, 16, 1                                 // 000000007D28: D1C800D0 0205211F
	v_add3_u32 v208, v31, v208, v211                           // 000000007D30: D1FF00D0 074FA11F
	v_cndmask_b32_e64 v29, v208, v210, s[74:75]                // 000000007D38: D100001D 012BA5D0
	v_and_or_b32 v79, v29, v209, v28                           // 000000007D40: D201004F 0473A31D
	ds_write_b64 v25, v[56:57]                                 // 000000007D48: D89A0000 00003819
	ds_write_b64 v25, v[58:59] offset:544                      // 000000007D50: D89A0220 00003A19
	ds_write_b64 v25, v[60:61] offset:1088                     // 000000007D58: D89A0440 00003C19
	ds_write_b64 v25, v[62:63] offset:1632                     // 000000007D60: D89A0660 00003E19
	ds_write_b64 v25, v[64:65] offset:2176                     // 000000007D68: D89A0880 00004019
	ds_write_b64 v25, v[66:67] offset:2720                     // 000000007D70: D89A0AA0 00004219
	ds_write_b64 v25, v[68:69] offset:3264                     // 000000007D78: D89A0CC0 00004419
	ds_write_b64 v25, v[70:71] offset:3808                     // 000000007D80: D89A0EE0 00004619
	ds_write_b64 v25, v[72:73] offset:4352                     // 000000007D88: D89A1100 00004819
	ds_write_b64 v25, v[74:75] offset:4896                     // 000000007D90: D89A1320 00004A19
	ds_write_b64 v25, v[76:77] offset:5440                     // 000000007D98: D89A1540 00004C19
	ds_write_b64 v25, v[78:79] offset:5984                     // 000000007DA0: D89A1760 00004E19
	s_waitcnt lgkmcnt(0)                                       // 000000007DA8: BF8CC07F
	s_barrier                                                  // 000000007DAC: BF8A0000
	ds_read_b64 v[56:57], v24                                  // 000000007DB0: D8EC0000 38000018
	ds_read_b64 v[58:59], v24 offset:128                       // 000000007DB8: D8EC0080 3A000018
	ds_read_b64 v[60:61], v24 offset:64                        // 000000007DC0: D8EC0040 3C000018
	ds_read_b64 v[62:63], v24 offset:192                       // 000000007DC8: D8EC00C0 3E000018
	ds_read_b64 v[64:65], v24 offset:2176                      // 000000007DD0: D8EC0880 40000018
	ds_read_b64 v[66:67], v24 offset:2304                      // 000000007DD8: D8EC0900 42000018
	ds_read_b64 v[68:69], v24 offset:2240                      // 000000007DE0: D8EC08C0 44000018
	ds_read_b64 v[70:71], v24 offset:2368                      // 000000007DE8: D8EC0940 46000018
	ds_read_b64 v[72:73], v24 offset:4352                      // 000000007DF0: D8EC1100 48000018
	ds_read_b64 v[74:75], v24 offset:4480                      // 000000007DF8: D8EC1180 4A000018
	ds_read_b64 v[76:77], v24 offset:4416                      // 000000007E00: D8EC1140 4C000018
	ds_read_b64 v[78:79], v24 offset:4544                      // 000000007E08: D8EC11C0 4E000018
	s_waitcnt lgkmcnt(0)                                       // 000000007E10: BF8CC07F
	buffer_store_dwordx4 v[56:59], v3, s[36:39], 0 idxen       // 000000007E14: E07C2000 80093803
	v_add_u32_e32 v3, 32, v3                                   // 000000007E1C: 680606A0
	buffer_store_dwordx4 v[60:63], v4, s[36:39], 0 idxen       // 000000007E20: E07C2000 80093C04
	v_add_u32_e32 v4, 32, v4                                   // 000000007E28: 680808A0
	buffer_store_dwordx4 v[64:67], v3, s[36:39], 0 idxen       // 000000007E2C: E07C2000 80094003
	v_add_u32_e32 v3, 32, v3                                   // 000000007E34: 680606A0
	buffer_store_dwordx4 v[68:71], v4, s[36:39], 0 idxen       // 000000007E38: E07C2000 80094404
	v_add_u32_e32 v4, 32, v4                                   // 000000007E40: 680808A0
	s_mov_b64 exec, s[90:91]                                   // 000000007E44: BEFE015A
	buffer_store_dwordx4 v[72:75], v3, s[36:39], 0 idxen       // 000000007E48: E07C2000 80094803
	s_mov_b64 exec, s[86:87]                                   // 000000007E50: BEFE0156
	v_add_u32_e32 v3, 32, v3                                   // 000000007E54: 680606A0
	s_mov_b64 exec, s[90:91]                                   // 000000007E58: BEFE015A
	buffer_store_dwordx4 v[76:79], v4, s[36:39], 0 idxen       // 000000007E5C: E07C2000 80094C04
	s_mov_b64 exec, s[86:87]                                   // 000000007E64: BEFE0156
	v_add_u32_e32 v4, 32, v4                                   // 000000007E68: 680808A0
	s_barrier                                                  // 000000007E6C: BF8A0000
	v_mov_b32_e32 v30, v160                                    // 000000007E70: 7E3C03A0
	v_mov_b32_e32 v31, v161                                    // 000000007E74: 7E3E03A1
	v_cmp_u_f32_e64 s[74:75], v30, v30                         // 000000007E78: D048004A 00023D1E
	v_bfe_u32 v208, v30, 16, 1                                 // 000000007E80: D1C800D0 0205211E
	v_add3_u32 v208, v30, v208, v211                           // 000000007E88: D1FF00D0 074FA11E
	v_cndmask_b32_e64 v28, v208, v210, s[74:75]                // 000000007E90: D100001C 012BA5D0
	v_lshrrev_b32_e32 v28, 16, v28                             // 000000007E98: 20383890
	v_cmp_u_f32_e64 s[74:75], v31, v31                         // 000000007E9C: D048004A 00023F1F
	v_bfe_u32 v208, v31, 16, 1                                 // 000000007EA4: D1C800D0 0205211F
	v_add3_u32 v208, v31, v208, v211                           // 000000007EAC: D1FF00D0 074FA11F
	v_cndmask_b32_e64 v29, v208, v210, s[74:75]                // 000000007EB4: D100001D 012BA5D0
	v_and_or_b32 v160, v29, v209, v28                          // 000000007EBC: D20100A0 0473A31D
	v_mov_b32_e32 v30, v162                                    // 000000007EC4: 7E3C03A2
	v_mov_b32_e32 v31, v163                                    // 000000007EC8: 7E3E03A3
	v_cmp_u_f32_e64 s[74:75], v30, v30                         // 000000007ECC: D048004A 00023D1E
	v_bfe_u32 v208, v30, 16, 1                                 // 000000007ED4: D1C800D0 0205211E
	v_add3_u32 v208, v30, v208, v211                           // 000000007EDC: D1FF00D0 074FA11E
	v_cndmask_b32_e64 v28, v208, v210, s[74:75]                // 000000007EE4: D100001C 012BA5D0
	v_lshrrev_b32_e32 v28, 16, v28                             // 000000007EEC: 20383890
	v_cmp_u_f32_e64 s[74:75], v31, v31                         // 000000007EF0: D048004A 00023F1F
	v_bfe_u32 v208, v31, 16, 1                                 // 000000007EF8: D1C800D0 0205211F
	v_add3_u32 v208, v31, v208, v211                           // 000000007F00: D1FF00D0 074FA11F
	v_cndmask_b32_e64 v29, v208, v210, s[74:75]                // 000000007F08: D100001D 012BA5D0
	v_and_or_b32 v161, v29, v209, v28                          // 000000007F10: D20100A1 0473A31D
	v_mov_b32_e32 v30, v164                                    // 000000007F18: 7E3C03A4
	v_mov_b32_e32 v31, v165                                    // 000000007F1C: 7E3E03A5
	v_cmp_u_f32_e64 s[74:75], v30, v30                         // 000000007F20: D048004A 00023D1E
	v_bfe_u32 v208, v30, 16, 1                                 // 000000007F28: D1C800D0 0205211E
	v_add3_u32 v208, v30, v208, v211                           // 000000007F30: D1FF00D0 074FA11E
	v_cndmask_b32_e64 v28, v208, v210, s[74:75]                // 000000007F38: D100001C 012BA5D0
	v_lshrrev_b32_e32 v28, 16, v28                             // 000000007F40: 20383890
	v_cmp_u_f32_e64 s[74:75], v31, v31                         // 000000007F44: D048004A 00023F1F
	v_bfe_u32 v208, v31, 16, 1                                 // 000000007F4C: D1C800D0 0205211F
	v_add3_u32 v208, v31, v208, v211                           // 000000007F54: D1FF00D0 074FA11F
	v_cndmask_b32_e64 v29, v208, v210, s[74:75]                // 000000007F5C: D100001D 012BA5D0
	v_and_or_b32 v162, v29, v209, v28                          // 000000007F64: D20100A2 0473A31D
	v_mov_b32_e32 v30, v166                                    // 000000007F6C: 7E3C03A6
	v_mov_b32_e32 v31, v167                                    // 000000007F70: 7E3E03A7
	v_cmp_u_f32_e64 s[74:75], v30, v30                         // 000000007F74: D048004A 00023D1E
	v_bfe_u32 v208, v30, 16, 1                                 // 000000007F7C: D1C800D0 0205211E
	v_add3_u32 v208, v30, v208, v211                           // 000000007F84: D1FF00D0 074FA11E
	v_cndmask_b32_e64 v28, v208, v210, s[74:75]                // 000000007F8C: D100001C 012BA5D0
	v_lshrrev_b32_e32 v28, 16, v28                             // 000000007F94: 20383890
	v_cmp_u_f32_e64 s[74:75], v31, v31                         // 000000007F98: D048004A 00023F1F
	v_bfe_u32 v208, v31, 16, 1                                 // 000000007FA0: D1C800D0 0205211F
	v_add3_u32 v208, v31, v208, v211                           // 000000007FA8: D1FF00D0 074FA11F
	v_cndmask_b32_e64 v29, v208, v210, s[74:75]                // 000000007FB0: D100001D 012BA5D0
	v_and_or_b32 v163, v29, v209, v28                          // 000000007FB8: D20100A3 0473A31D
	v_mov_b32_e32 v30, v168                                    // 000000007FC0: 7E3C03A8
	v_mov_b32_e32 v31, v169                                    // 000000007FC4: 7E3E03A9
	v_cmp_u_f32_e64 s[74:75], v30, v30                         // 000000007FC8: D048004A 00023D1E
	v_bfe_u32 v208, v30, 16, 1                                 // 000000007FD0: D1C800D0 0205211E
	v_add3_u32 v208, v30, v208, v211                           // 000000007FD8: D1FF00D0 074FA11E
	v_cndmask_b32_e64 v28, v208, v210, s[74:75]                // 000000007FE0: D100001C 012BA5D0
	v_lshrrev_b32_e32 v28, 16, v28                             // 000000007FE8: 20383890
	v_cmp_u_f32_e64 s[74:75], v31, v31                         // 000000007FEC: D048004A 00023F1F
	v_bfe_u32 v208, v31, 16, 1                                 // 000000007FF4: D1C800D0 0205211F
	v_add3_u32 v208, v31, v208, v211                           // 000000007FFC: D1FF00D0 074FA11F
	v_cndmask_b32_e64 v29, v208, v210, s[74:75]                // 000000008004: D100001D 012BA5D0
	v_and_or_b32 v164, v29, v209, v28                          // 00000000800C: D20100A4 0473A31D
	v_mov_b32_e32 v30, v170                                    // 000000008014: 7E3C03AA
	v_mov_b32_e32 v31, v171                                    // 000000008018: 7E3E03AB
	v_cmp_u_f32_e64 s[74:75], v30, v30                         // 00000000801C: D048004A 00023D1E
	v_bfe_u32 v208, v30, 16, 1                                 // 000000008024: D1C800D0 0205211E
	v_add3_u32 v208, v30, v208, v211                           // 00000000802C: D1FF00D0 074FA11E
	v_cndmask_b32_e64 v28, v208, v210, s[74:75]                // 000000008034: D100001C 012BA5D0
	v_lshrrev_b32_e32 v28, 16, v28                             // 00000000803C: 20383890
	v_cmp_u_f32_e64 s[74:75], v31, v31                         // 000000008040: D048004A 00023F1F
	v_bfe_u32 v208, v31, 16, 1                                 // 000000008048: D1C800D0 0205211F
	v_add3_u32 v208, v31, v208, v211                           // 000000008050: D1FF00D0 074FA11F
	v_cndmask_b32_e64 v29, v208, v210, s[74:75]                // 000000008058: D100001D 012BA5D0
	v_and_or_b32 v165, v29, v209, v28                          // 000000008060: D20100A5 0473A31D
	v_mov_b32_e32 v30, v172                                    // 000000008068: 7E3C03AC
	v_mov_b32_e32 v31, v173                                    // 00000000806C: 7E3E03AD
	v_cmp_u_f32_e64 s[74:75], v30, v30                         // 000000008070: D048004A 00023D1E
	v_bfe_u32 v208, v30, 16, 1                                 // 000000008078: D1C800D0 0205211E
	v_add3_u32 v208, v30, v208, v211                           // 000000008080: D1FF00D0 074FA11E
	v_cndmask_b32_e64 v28, v208, v210, s[74:75]                // 000000008088: D100001C 012BA5D0
	v_lshrrev_b32_e32 v28, 16, v28                             // 000000008090: 20383890
	v_cmp_u_f32_e64 s[74:75], v31, v31                         // 000000008094: D048004A 00023F1F
	v_bfe_u32 v208, v31, 16, 1                                 // 00000000809C: D1C800D0 0205211F
	v_add3_u32 v208, v31, v208, v211                           // 0000000080A4: D1FF00D0 074FA11F
	v_cndmask_b32_e64 v29, v208, v210, s[74:75]                // 0000000080AC: D100001D 012BA5D0
	v_and_or_b32 v166, v29, v209, v28                          // 0000000080B4: D20100A6 0473A31D
	v_mov_b32_e32 v30, v174                                    // 0000000080BC: 7E3C03AE
	v_mov_b32_e32 v31, v175                                    // 0000000080C0: 7E3E03AF
	v_cmp_u_f32_e64 s[74:75], v30, v30                         // 0000000080C4: D048004A 00023D1E
	v_bfe_u32 v208, v30, 16, 1                                 // 0000000080CC: D1C800D0 0205211E
	v_add3_u32 v208, v30, v208, v211                           // 0000000080D4: D1FF00D0 074FA11E
	v_cndmask_b32_e64 v28, v208, v210, s[74:75]                // 0000000080DC: D100001C 012BA5D0
	v_lshrrev_b32_e32 v28, 16, v28                             // 0000000080E4: 20383890
	v_cmp_u_f32_e64 s[74:75], v31, v31                         // 0000000080E8: D048004A 00023F1F
	v_bfe_u32 v208, v31, 16, 1                                 // 0000000080F0: D1C800D0 0205211F
	v_add3_u32 v208, v31, v208, v211                           // 0000000080F8: D1FF00D0 074FA11F
	v_cndmask_b32_e64 v29, v208, v210, s[74:75]                // 000000008100: D100001D 012BA5D0
	v_and_or_b32 v167, v29, v209, v28                          // 000000008108: D20100A7 0473A31D
	v_mov_b32_e32 v30, v176                                    // 000000008110: 7E3C03B0
	v_mov_b32_e32 v31, v177                                    // 000000008114: 7E3E03B1
	v_cmp_u_f32_e64 s[74:75], v30, v30                         // 000000008118: D048004A 00023D1E
	v_bfe_u32 v208, v30, 16, 1                                 // 000000008120: D1C800D0 0205211E
	v_add3_u32 v208, v30, v208, v211                           // 000000008128: D1FF00D0 074FA11E
	v_cndmask_b32_e64 v28, v208, v210, s[74:75]                // 000000008130: D100001C 012BA5D0
	v_lshrrev_b32_e32 v28, 16, v28                             // 000000008138: 20383890
	v_cmp_u_f32_e64 s[74:75], v31, v31                         // 00000000813C: D048004A 00023F1F
	v_bfe_u32 v208, v31, 16, 1                                 // 000000008144: D1C800D0 0205211F
	v_add3_u32 v208, v31, v208, v211                           // 00000000814C: D1FF00D0 074FA11F
	v_cndmask_b32_e64 v29, v208, v210, s[74:75]                // 000000008154: D100001D 012BA5D0
	v_and_or_b32 v168, v29, v209, v28                          // 00000000815C: D20100A8 0473A31D
	v_mov_b32_e32 v30, v178                                    // 000000008164: 7E3C03B2
	v_mov_b32_e32 v31, v179                                    // 000000008168: 7E3E03B3
	v_cmp_u_f32_e64 s[74:75], v30, v30                         // 00000000816C: D048004A 00023D1E
	v_bfe_u32 v208, v30, 16, 1                                 // 000000008174: D1C800D0 0205211E
	v_add3_u32 v208, v30, v208, v211                           // 00000000817C: D1FF00D0 074FA11E
	v_cndmask_b32_e64 v28, v208, v210, s[74:75]                // 000000008184: D100001C 012BA5D0
	v_lshrrev_b32_e32 v28, 16, v28                             // 00000000818C: 20383890
	v_cmp_u_f32_e64 s[74:75], v31, v31                         // 000000008190: D048004A 00023F1F
	v_bfe_u32 v208, v31, 16, 1                                 // 000000008198: D1C800D0 0205211F
	v_add3_u32 v208, v31, v208, v211                           // 0000000081A0: D1FF00D0 074FA11F
	v_cndmask_b32_e64 v29, v208, v210, s[74:75]                // 0000000081A8: D100001D 012BA5D0
	v_and_or_b32 v169, v29, v209, v28                          // 0000000081B0: D20100A9 0473A31D
	v_mov_b32_e32 v30, v180                                    // 0000000081B8: 7E3C03B4
	v_mov_b32_e32 v31, v181                                    // 0000000081BC: 7E3E03B5
	v_cmp_u_f32_e64 s[74:75], v30, v30                         // 0000000081C0: D048004A 00023D1E
	v_bfe_u32 v208, v30, 16, 1                                 // 0000000081C8: D1C800D0 0205211E
	v_add3_u32 v208, v30, v208, v211                           // 0000000081D0: D1FF00D0 074FA11E
	v_cndmask_b32_e64 v28, v208, v210, s[74:75]                // 0000000081D8: D100001C 012BA5D0
	v_lshrrev_b32_e32 v28, 16, v28                             // 0000000081E0: 20383890
	v_cmp_u_f32_e64 s[74:75], v31, v31                         // 0000000081E4: D048004A 00023F1F
	v_bfe_u32 v208, v31, 16, 1                                 // 0000000081EC: D1C800D0 0205211F
	v_add3_u32 v208, v31, v208, v211                           // 0000000081F4: D1FF00D0 074FA11F
	v_cndmask_b32_e64 v29, v208, v210, s[74:75]                // 0000000081FC: D100001D 012BA5D0
	v_and_or_b32 v170, v29, v209, v28                          // 000000008204: D20100AA 0473A31D
	v_mov_b32_e32 v30, v182                                    // 00000000820C: 7E3C03B6
	v_mov_b32_e32 v31, v183                                    // 000000008210: 7E3E03B7
	v_cmp_u_f32_e64 s[74:75], v30, v30                         // 000000008214: D048004A 00023D1E
	v_bfe_u32 v208, v30, 16, 1                                 // 00000000821C: D1C800D0 0205211E
	v_add3_u32 v208, v30, v208, v211                           // 000000008224: D1FF00D0 074FA11E
	v_cndmask_b32_e64 v28, v208, v210, s[74:75]                // 00000000822C: D100001C 012BA5D0
	v_lshrrev_b32_e32 v28, 16, v28                             // 000000008234: 20383890
	v_cmp_u_f32_e64 s[74:75], v31, v31                         // 000000008238: D048004A 00023F1F
	v_bfe_u32 v208, v31, 16, 1                                 // 000000008240: D1C800D0 0205211F
	v_add3_u32 v208, v31, v208, v211                           // 000000008248: D1FF00D0 074FA11F
	v_cndmask_b32_e64 v29, v208, v210, s[74:75]                // 000000008250: D100001D 012BA5D0
	v_and_or_b32 v171, v29, v209, v28                          // 000000008258: D20100AB 0473A31D
	v_mov_b32_e32 v30, v184                                    // 000000008260: 7E3C03B8
	v_mov_b32_e32 v31, v185                                    // 000000008264: 7E3E03B9
	v_cmp_u_f32_e64 s[74:75], v30, v30                         // 000000008268: D048004A 00023D1E
	v_bfe_u32 v208, v30, 16, 1                                 // 000000008270: D1C800D0 0205211E
	v_add3_u32 v208, v30, v208, v211                           // 000000008278: D1FF00D0 074FA11E
	v_cndmask_b32_e64 v28, v208, v210, s[74:75]                // 000000008280: D100001C 012BA5D0
	v_lshrrev_b32_e32 v28, 16, v28                             // 000000008288: 20383890
	v_cmp_u_f32_e64 s[74:75], v31, v31                         // 00000000828C: D048004A 00023F1F
	v_bfe_u32 v208, v31, 16, 1                                 // 000000008294: D1C800D0 0205211F
	v_add3_u32 v208, v31, v208, v211                           // 00000000829C: D1FF00D0 074FA11F
	v_cndmask_b32_e64 v29, v208, v210, s[74:75]                // 0000000082A4: D100001D 012BA5D0
	v_and_or_b32 v172, v29, v209, v28                          // 0000000082AC: D20100AC 0473A31D
	v_mov_b32_e32 v30, v186                                    // 0000000082B4: 7E3C03BA
	v_mov_b32_e32 v31, v187                                    // 0000000082B8: 7E3E03BB
	v_cmp_u_f32_e64 s[74:75], v30, v30                         // 0000000082BC: D048004A 00023D1E
	v_bfe_u32 v208, v30, 16, 1                                 // 0000000082C4: D1C800D0 0205211E
	v_add3_u32 v208, v30, v208, v211                           // 0000000082CC: D1FF00D0 074FA11E
	v_cndmask_b32_e64 v28, v208, v210, s[74:75]                // 0000000082D4: D100001C 012BA5D0
	v_lshrrev_b32_e32 v28, 16, v28                             // 0000000082DC: 20383890
	v_cmp_u_f32_e64 s[74:75], v31, v31                         // 0000000082E0: D048004A 00023F1F
	v_bfe_u32 v208, v31, 16, 1                                 // 0000000082E8: D1C800D0 0205211F
	v_add3_u32 v208, v31, v208, v211                           // 0000000082F0: D1FF00D0 074FA11F
	v_cndmask_b32_e64 v29, v208, v210, s[74:75]                // 0000000082F8: D100001D 012BA5D0
	v_and_or_b32 v173, v29, v209, v28                          // 000000008300: D20100AD 0473A31D
	v_mov_b32_e32 v30, v188                                    // 000000008308: 7E3C03BC
	v_mov_b32_e32 v31, v189                                    // 00000000830C: 7E3E03BD
	v_cmp_u_f32_e64 s[74:75], v30, v30                         // 000000008310: D048004A 00023D1E
	v_bfe_u32 v208, v30, 16, 1                                 // 000000008318: D1C800D0 0205211E
	v_add3_u32 v208, v30, v208, v211                           // 000000008320: D1FF00D0 074FA11E
	v_cndmask_b32_e64 v28, v208, v210, s[74:75]                // 000000008328: D100001C 012BA5D0
	v_lshrrev_b32_e32 v28, 16, v28                             // 000000008330: 20383890
	v_cmp_u_f32_e64 s[74:75], v31, v31                         // 000000008334: D048004A 00023F1F
	v_bfe_u32 v208, v31, 16, 1                                 // 00000000833C: D1C800D0 0205211F
	v_add3_u32 v208, v31, v208, v211                           // 000000008344: D1FF00D0 074FA11F
	v_cndmask_b32_e64 v29, v208, v210, s[74:75]                // 00000000834C: D100001D 012BA5D0
	v_and_or_b32 v174, v29, v209, v28                          // 000000008354: D20100AE 0473A31D
	v_mov_b32_e32 v30, v190                                    // 00000000835C: 7E3C03BE
	v_mov_b32_e32 v31, v191                                    // 000000008360: 7E3E03BF
	v_cmp_u_f32_e64 s[74:75], v30, v30                         // 000000008364: D048004A 00023D1E
	v_bfe_u32 v208, v30, 16, 1                                 // 00000000836C: D1C800D0 0205211E
	v_add3_u32 v208, v30, v208, v211                           // 000000008374: D1FF00D0 074FA11E
	v_cndmask_b32_e64 v28, v208, v210, s[74:75]                // 00000000837C: D100001C 012BA5D0
	v_lshrrev_b32_e32 v28, 16, v28                             // 000000008384: 20383890
	v_cmp_u_f32_e64 s[74:75], v31, v31                         // 000000008388: D048004A 00023F1F
	v_bfe_u32 v208, v31, 16, 1                                 // 000000008390: D1C800D0 0205211F
	v_add3_u32 v208, v31, v208, v211                           // 000000008398: D1FF00D0 074FA11F
	v_cndmask_b32_e64 v29, v208, v210, s[74:75]                // 0000000083A0: D100001D 012BA5D0
	v_and_or_b32 v175, v29, v209, v28                          // 0000000083A8: D20100AF 0473A31D
	v_mov_b32_e32 v30, v192                                    // 0000000083B0: 7E3C03C0
	v_mov_b32_e32 v31, v193                                    // 0000000083B4: 7E3E03C1
	v_cmp_u_f32_e64 s[74:75], v30, v30                         // 0000000083B8: D048004A 00023D1E
	v_bfe_u32 v208, v30, 16, 1                                 // 0000000083C0: D1C800D0 0205211E
	v_add3_u32 v208, v30, v208, v211                           // 0000000083C8: D1FF00D0 074FA11E
	v_cndmask_b32_e64 v28, v208, v210, s[74:75]                // 0000000083D0: D100001C 012BA5D0
	v_lshrrev_b32_e32 v28, 16, v28                             // 0000000083D8: 20383890
	v_cmp_u_f32_e64 s[74:75], v31, v31                         // 0000000083DC: D048004A 00023F1F
	v_bfe_u32 v208, v31, 16, 1                                 // 0000000083E4: D1C800D0 0205211F
	v_add3_u32 v208, v31, v208, v211                           // 0000000083EC: D1FF00D0 074FA11F
	v_cndmask_b32_e64 v29, v208, v210, s[74:75]                // 0000000083F4: D100001D 012BA5D0
	v_and_or_b32 v176, v29, v209, v28                          // 0000000083FC: D20100B0 0473A31D
	v_mov_b32_e32 v30, v194                                    // 000000008404: 7E3C03C2
	v_mov_b32_e32 v31, v195                                    // 000000008408: 7E3E03C3
	v_cmp_u_f32_e64 s[74:75], v30, v30                         // 00000000840C: D048004A 00023D1E
	v_bfe_u32 v208, v30, 16, 1                                 // 000000008414: D1C800D0 0205211E
	v_add3_u32 v208, v30, v208, v211                           // 00000000841C: D1FF00D0 074FA11E
	v_cndmask_b32_e64 v28, v208, v210, s[74:75]                // 000000008424: D100001C 012BA5D0
	v_lshrrev_b32_e32 v28, 16, v28                             // 00000000842C: 20383890
	v_cmp_u_f32_e64 s[74:75], v31, v31                         // 000000008430: D048004A 00023F1F
	v_bfe_u32 v208, v31, 16, 1                                 // 000000008438: D1C800D0 0205211F
	v_add3_u32 v208, v31, v208, v211                           // 000000008440: D1FF00D0 074FA11F
	v_cndmask_b32_e64 v29, v208, v210, s[74:75]                // 000000008448: D100001D 012BA5D0
	v_and_or_b32 v177, v29, v209, v28                          // 000000008450: D20100B1 0473A31D
	v_mov_b32_e32 v30, v196                                    // 000000008458: 7E3C03C4
	v_mov_b32_e32 v31, v197                                    // 00000000845C: 7E3E03C5
	v_cmp_u_f32_e64 s[74:75], v30, v30                         // 000000008460: D048004A 00023D1E
	v_bfe_u32 v208, v30, 16, 1                                 // 000000008468: D1C800D0 0205211E
	v_add3_u32 v208, v30, v208, v211                           // 000000008470: D1FF00D0 074FA11E
	v_cndmask_b32_e64 v28, v208, v210, s[74:75]                // 000000008478: D100001C 012BA5D0
	v_lshrrev_b32_e32 v28, 16, v28                             // 000000008480: 20383890
	v_cmp_u_f32_e64 s[74:75], v31, v31                         // 000000008484: D048004A 00023F1F
	v_bfe_u32 v208, v31, 16, 1                                 // 00000000848C: D1C800D0 0205211F
	v_add3_u32 v208, v31, v208, v211                           // 000000008494: D1FF00D0 074FA11F
	v_cndmask_b32_e64 v29, v208, v210, s[74:75]                // 00000000849C: D100001D 012BA5D0
	v_and_or_b32 v178, v29, v209, v28                          // 0000000084A4: D20100B2 0473A31D
	v_mov_b32_e32 v30, v198                                    // 0000000084AC: 7E3C03C6
	v_mov_b32_e32 v31, v199                                    // 0000000084B0: 7E3E03C7
	v_cmp_u_f32_e64 s[74:75], v30, v30                         // 0000000084B4: D048004A 00023D1E
	v_bfe_u32 v208, v30, 16, 1                                 // 0000000084BC: D1C800D0 0205211E
	v_add3_u32 v208, v30, v208, v211                           // 0000000084C4: D1FF00D0 074FA11E
	v_cndmask_b32_e64 v28, v208, v210, s[74:75]                // 0000000084CC: D100001C 012BA5D0
	v_lshrrev_b32_e32 v28, 16, v28                             // 0000000084D4: 20383890
	v_cmp_u_f32_e64 s[74:75], v31, v31                         // 0000000084D8: D048004A 00023F1F
	v_bfe_u32 v208, v31, 16, 1                                 // 0000000084E0: D1C800D0 0205211F
	v_add3_u32 v208, v31, v208, v211                           // 0000000084E8: D1FF00D0 074FA11F
	v_cndmask_b32_e64 v29, v208, v210, s[74:75]                // 0000000084F0: D100001D 012BA5D0
	v_and_or_b32 v179, v29, v209, v28                          // 0000000084F8: D20100B3 0473A31D
	v_mov_b32_e32 v30, v200                                    // 000000008500: 7E3C03C8
	v_mov_b32_e32 v31, v201                                    // 000000008504: 7E3E03C9
	v_cmp_u_f32_e64 s[74:75], v30, v30                         // 000000008508: D048004A 00023D1E
	v_bfe_u32 v208, v30, 16, 1                                 // 000000008510: D1C800D0 0205211E
	v_add3_u32 v208, v30, v208, v211                           // 000000008518: D1FF00D0 074FA11E
	v_cndmask_b32_e64 v28, v208, v210, s[74:75]                // 000000008520: D100001C 012BA5D0
	v_lshrrev_b32_e32 v28, 16, v28                             // 000000008528: 20383890
	v_cmp_u_f32_e64 s[74:75], v31, v31                         // 00000000852C: D048004A 00023F1F
	v_bfe_u32 v208, v31, 16, 1                                 // 000000008534: D1C800D0 0205211F
	v_add3_u32 v208, v31, v208, v211                           // 00000000853C: D1FF00D0 074FA11F
	v_cndmask_b32_e64 v29, v208, v210, s[74:75]                // 000000008544: D100001D 012BA5D0
	v_and_or_b32 v180, v29, v209, v28                          // 00000000854C: D20100B4 0473A31D
	v_mov_b32_e32 v30, v202                                    // 000000008554: 7E3C03CA
	v_mov_b32_e32 v31, v203                                    // 000000008558: 7E3E03CB
	v_cmp_u_f32_e64 s[74:75], v30, v30                         // 00000000855C: D048004A 00023D1E
	v_bfe_u32 v208, v30, 16, 1                                 // 000000008564: D1C800D0 0205211E
	v_add3_u32 v208, v30, v208, v211                           // 00000000856C: D1FF00D0 074FA11E
	v_cndmask_b32_e64 v28, v208, v210, s[74:75]                // 000000008574: D100001C 012BA5D0
	v_lshrrev_b32_e32 v28, 16, v28                             // 00000000857C: 20383890
	v_cmp_u_f32_e64 s[74:75], v31, v31                         // 000000008580: D048004A 00023F1F
	v_bfe_u32 v208, v31, 16, 1                                 // 000000008588: D1C800D0 0205211F
	v_add3_u32 v208, v31, v208, v211                           // 000000008590: D1FF00D0 074FA11F
	v_cndmask_b32_e64 v29, v208, v210, s[74:75]                // 000000008598: D100001D 012BA5D0
	v_and_or_b32 v181, v29, v209, v28                          // 0000000085A0: D20100B5 0473A31D
	v_mov_b32_e32 v30, v204                                    // 0000000085A8: 7E3C03CC
	v_mov_b32_e32 v31, v205                                    // 0000000085AC: 7E3E03CD
	v_cmp_u_f32_e64 s[74:75], v30, v30                         // 0000000085B0: D048004A 00023D1E
	v_bfe_u32 v208, v30, 16, 1                                 // 0000000085B8: D1C800D0 0205211E
	v_add3_u32 v208, v30, v208, v211                           // 0000000085C0: D1FF00D0 074FA11E
	v_cndmask_b32_e64 v28, v208, v210, s[74:75]                // 0000000085C8: D100001C 012BA5D0
	v_lshrrev_b32_e32 v28, 16, v28                             // 0000000085D0: 20383890
	v_cmp_u_f32_e64 s[74:75], v31, v31                         // 0000000085D4: D048004A 00023F1F
	v_bfe_u32 v208, v31, 16, 1                                 // 0000000085DC: D1C800D0 0205211F
	v_add3_u32 v208, v31, v208, v211                           // 0000000085E4: D1FF00D0 074FA11F
	v_cndmask_b32_e64 v29, v208, v210, s[74:75]                // 0000000085EC: D100001D 012BA5D0
	v_and_or_b32 v182, v29, v209, v28                          // 0000000085F4: D20100B6 0473A31D
	v_mov_b32_e32 v30, v206                                    // 0000000085FC: 7E3C03CE
	v_mov_b32_e32 v31, v207                                    // 000000008600: 7E3E03CF
	v_cmp_u_f32_e64 s[74:75], v30, v30                         // 000000008604: D048004A 00023D1E
	v_bfe_u32 v208, v30, 16, 1                                 // 00000000860C: D1C800D0 0205211E
	v_add3_u32 v208, v30, v208, v211                           // 000000008614: D1FF00D0 074FA11E
	v_cndmask_b32_e64 v28, v208, v210, s[74:75]                // 00000000861C: D100001C 012BA5D0
	v_lshrrev_b32_e32 v28, 16, v28                             // 000000008624: 20383890
	v_cmp_u_f32_e64 s[74:75], v31, v31                         // 000000008628: D048004A 00023F1F
	v_bfe_u32 v208, v31, 16, 1                                 // 000000008630: D1C800D0 0205211F
	v_add3_u32 v208, v31, v208, v211                           // 000000008638: D1FF00D0 074FA11F
	v_cndmask_b32_e64 v29, v208, v210, s[74:75]                // 000000008640: D100001D 012BA5D0
	v_and_or_b32 v183, v29, v209, v28                          // 000000008648: D20100B7 0473A31D
	ds_write_b64 v25, v[160:161]                               // 000000008650: D89A0000 0000A019
	ds_write_b64 v25, v[162:163] offset:544                    // 000000008658: D89A0220 0000A219
	ds_write_b64 v25, v[164:165] offset:1088                   // 000000008660: D89A0440 0000A419
	ds_write_b64 v25, v[166:167] offset:1632                   // 000000008668: D89A0660 0000A619
	ds_write_b64 v25, v[168:169] offset:2176                   // 000000008670: D89A0880 0000A819
	ds_write_b64 v25, v[170:171] offset:2720                   // 000000008678: D89A0AA0 0000AA19
	ds_write_b64 v25, v[172:173] offset:3264                   // 000000008680: D89A0CC0 0000AC19
	ds_write_b64 v25, v[174:175] offset:3808                   // 000000008688: D89A0EE0 0000AE19
	ds_write_b64 v25, v[176:177] offset:4352                   // 000000008690: D89A1100 0000B019
	ds_write_b64 v25, v[178:179] offset:4896                   // 000000008698: D89A1320 0000B219
	ds_write_b64 v25, v[180:181] offset:5440                   // 0000000086A0: D89A1540 0000B419
	ds_write_b64 v25, v[182:183] offset:5984                   // 0000000086A8: D89A1760 0000B619
	s_waitcnt lgkmcnt(0)                                       // 0000000086B0: BF8CC07F
	s_barrier                                                  // 0000000086B4: BF8A0000
	ds_read_b64 v[160:161], v24                                // 0000000086B8: D8EC0000 A0000018
	ds_read_b64 v[162:163], v24 offset:128                     // 0000000086C0: D8EC0080 A2000018
	ds_read_b64 v[164:165], v24 offset:64                      // 0000000086C8: D8EC0040 A4000018
	ds_read_b64 v[166:167], v24 offset:192                     // 0000000086D0: D8EC00C0 A6000018
	ds_read_b64 v[168:169], v24 offset:2176                    // 0000000086D8: D8EC0880 A8000018
	ds_read_b64 v[170:171], v24 offset:2304                    // 0000000086E0: D8EC0900 AA000018
	ds_read_b64 v[172:173], v24 offset:2240                    // 0000000086E8: D8EC08C0 AC000018
	ds_read_b64 v[174:175], v24 offset:2368                    // 0000000086F0: D8EC0940 AE000018
	ds_read_b64 v[176:177], v24 offset:4352                    // 0000000086F8: D8EC1100 B0000018
	ds_read_b64 v[178:179], v24 offset:4480                    // 000000008700: D8EC1180 B2000018
	ds_read_b64 v[180:181], v24 offset:4416                    // 000000008708: D8EC1140 B4000018
	ds_read_b64 v[182:183], v24 offset:4544                    // 000000008710: D8EC11C0 B6000018
	s_waitcnt lgkmcnt(0)                                       // 000000008718: BF8CC07F
	buffer_store_dwordx4 v[160:163], v5, s[40:43], 0 idxen     // 00000000871C: E07C2000 800AA005
	v_add_u32_e32 v5, 32, v5                                   // 000000008724: 680A0AA0
	buffer_store_dwordx4 v[164:167], v6, s[40:43], 0 idxen     // 000000008728: E07C2000 800AA406
	v_add_u32_e32 v6, 32, v6                                   // 000000008730: 680C0CA0
	buffer_store_dwordx4 v[168:171], v5, s[40:43], 0 idxen     // 000000008734: E07C2000 800AA805
	v_add_u32_e32 v5, 32, v5                                   // 00000000873C: 680A0AA0
	buffer_store_dwordx4 v[172:175], v6, s[40:43], 0 idxen     // 000000008740: E07C2000 800AAC06
	v_add_u32_e32 v6, 32, v6                                   // 000000008748: 680C0CA0
	s_mov_b64 exec, s[90:91]                                   // 00000000874C: BEFE015A
	buffer_store_dwordx4 v[176:179], v5, s[40:43], 0 idxen     // 000000008750: E07C2000 800AB005
	s_mov_b64 exec, s[86:87]                                   // 000000008758: BEFE0156
	v_add_u32_e32 v5, 32, v5                                   // 00000000875C: 680A0AA0
	s_mov_b64 exec, s[90:91]                                   // 000000008760: BEFE015A
	buffer_store_dwordx4 v[180:183], v6, s[40:43], 0 idxen     // 000000008764: E07C2000 800AB406
	s_mov_b64 exec, s[86:87]                                   // 00000000876C: BEFE0156
	v_add_u32_e32 v6, 32, v6                                   // 000000008770: 680C0CA0
	s_waitcnt vmcnt(0) expcnt(0) lgkmcnt(0)                    // 000000008774: BF8C0000
	s_endpgm                                                   // 000000008778: BF810000
